;; amdgpu-corpus repo=ROCm/rocFFT kind=compiled arch=gfx1201 opt=O3
	.text
	.amdgcn_target "amdgcn-amd-amdhsa--gfx1201"
	.amdhsa_code_object_version 6
	.protected	fft_rtc_back_len2700_factors_3_10_10_3_3_wgs_90_tpt_90_halfLds_sp_op_CI_CI_unitstride_sbrr_dirReg ; -- Begin function fft_rtc_back_len2700_factors_3_10_10_3_3_wgs_90_tpt_90_halfLds_sp_op_CI_CI_unitstride_sbrr_dirReg
	.globl	fft_rtc_back_len2700_factors_3_10_10_3_3_wgs_90_tpt_90_halfLds_sp_op_CI_CI_unitstride_sbrr_dirReg
	.p2align	8
	.type	fft_rtc_back_len2700_factors_3_10_10_3_3_wgs_90_tpt_90_halfLds_sp_op_CI_CI_unitstride_sbrr_dirReg,@function
fft_rtc_back_len2700_factors_3_10_10_3_3_wgs_90_tpt_90_halfLds_sp_op_CI_CI_unitstride_sbrr_dirReg: ; @fft_rtc_back_len2700_factors_3_10_10_3_3_wgs_90_tpt_90_halfLds_sp_op_CI_CI_unitstride_sbrr_dirReg
; %bb.0:
	s_clause 0x2
	s_load_b128 s[8:11], s[0:1], 0x0
	s_load_b128 s[4:7], s[0:1], 0x58
	;; [unrolled: 1-line block ×3, first 2 shown]
	v_mul_u32_u24_e32 v1, 0x2d9, v0
	v_mov_b32_e32 v7, 0
	v_mov_b32_e32 v5, 0
	;; [unrolled: 1-line block ×3, first 2 shown]
	s_delay_alu instid0(VALU_DEP_4) | instskip(NEXT) | instid1(VALU_DEP_1)
	v_lshrrev_b32_e32 v1, 16, v1
	v_dual_mov_b32 v10, v7 :: v_dual_add_nc_u32 v9, ttmp9, v1
	s_wait_kmcnt 0x0
	v_cmp_lt_u64_e64 s2, s[10:11], 2
	s_delay_alu instid0(VALU_DEP_1)
	s_and_b32 vcc_lo, exec_lo, s2
	s_cbranch_vccnz .LBB0_8
; %bb.1:
	s_load_b64 s[2:3], s[0:1], 0x10
	v_mov_b32_e32 v5, 0
	v_mov_b32_e32 v6, 0
	s_delay_alu instid0(VALU_DEP_2)
	v_mov_b32_e32 v1, v5
	s_add_nc_u64 s[16:17], s[14:15], 8
	s_add_nc_u64 s[18:19], s[12:13], 8
	s_mov_b64 s[20:21], 1
	v_mov_b32_e32 v2, v6
	s_wait_kmcnt 0x0
	s_add_nc_u64 s[22:23], s[2:3], 8
	s_mov_b32 s3, 0
.LBB0_2:                                ; =>This Inner Loop Header: Depth=1
	s_load_b64 s[24:25], s[22:23], 0x0
                                        ; implicit-def: $vgpr3_vgpr4
	s_mov_b32 s2, exec_lo
	s_wait_kmcnt 0x0
	v_or_b32_e32 v8, s25, v10
	s_delay_alu instid0(VALU_DEP_1)
	v_cmpx_ne_u64_e32 0, v[7:8]
	s_wait_alu 0xfffe
	s_xor_b32 s26, exec_lo, s2
	s_cbranch_execz .LBB0_4
; %bb.3:                                ;   in Loop: Header=BB0_2 Depth=1
	s_cvt_f32_u32 s2, s24
	s_cvt_f32_u32 s27, s25
	s_sub_nc_u64 s[30:31], 0, s[24:25]
	s_wait_alu 0xfffe
	s_delay_alu instid0(SALU_CYCLE_1) | instskip(SKIP_1) | instid1(SALU_CYCLE_2)
	s_fmamk_f32 s2, s27, 0x4f800000, s2
	s_wait_alu 0xfffe
	v_s_rcp_f32 s2, s2
	s_delay_alu instid0(TRANS32_DEP_1) | instskip(SKIP_1) | instid1(SALU_CYCLE_2)
	s_mul_f32 s2, s2, 0x5f7ffffc
	s_wait_alu 0xfffe
	s_mul_f32 s27, s2, 0x2f800000
	s_wait_alu 0xfffe
	s_delay_alu instid0(SALU_CYCLE_2) | instskip(SKIP_1) | instid1(SALU_CYCLE_2)
	s_trunc_f32 s27, s27
	s_wait_alu 0xfffe
	s_fmamk_f32 s2, s27, 0xcf800000, s2
	s_cvt_u32_f32 s29, s27
	s_wait_alu 0xfffe
	s_delay_alu instid0(SALU_CYCLE_1) | instskip(SKIP_1) | instid1(SALU_CYCLE_2)
	s_cvt_u32_f32 s28, s2
	s_wait_alu 0xfffe
	s_mul_u64 s[34:35], s[30:31], s[28:29]
	s_wait_alu 0xfffe
	s_mul_hi_u32 s37, s28, s35
	s_mul_i32 s36, s28, s35
	s_mul_hi_u32 s2, s28, s34
	s_mul_i32 s33, s29, s34
	s_wait_alu 0xfffe
	s_add_nc_u64 s[36:37], s[2:3], s[36:37]
	s_mul_hi_u32 s27, s29, s34
	s_mul_hi_u32 s38, s29, s35
	s_add_co_u32 s2, s36, s33
	s_wait_alu 0xfffe
	s_add_co_ci_u32 s2, s37, s27
	s_mul_i32 s34, s29, s35
	s_add_co_ci_u32 s35, s38, 0
	s_wait_alu 0xfffe
	s_add_nc_u64 s[34:35], s[2:3], s[34:35]
	s_wait_alu 0xfffe
	v_add_co_u32 v3, s2, s28, s34
	s_delay_alu instid0(VALU_DEP_1) | instskip(SKIP_1) | instid1(VALU_DEP_1)
	s_cmp_lg_u32 s2, 0
	s_add_co_ci_u32 s29, s29, s35
	v_readfirstlane_b32 s28, v3
	s_wait_alu 0xfffe
	s_delay_alu instid0(VALU_DEP_1)
	s_mul_u64 s[30:31], s[30:31], s[28:29]
	s_wait_alu 0xfffe
	s_mul_hi_u32 s35, s28, s31
	s_mul_i32 s34, s28, s31
	s_mul_hi_u32 s2, s28, s30
	s_mul_i32 s33, s29, s30
	s_wait_alu 0xfffe
	s_add_nc_u64 s[34:35], s[2:3], s[34:35]
	s_mul_hi_u32 s27, s29, s30
	s_mul_hi_u32 s28, s29, s31
	s_wait_alu 0xfffe
	s_add_co_u32 s2, s34, s33
	s_add_co_ci_u32 s2, s35, s27
	s_mul_i32 s30, s29, s31
	s_add_co_ci_u32 s31, s28, 0
	s_wait_alu 0xfffe
	s_add_nc_u64 s[30:31], s[2:3], s[30:31]
	s_wait_alu 0xfffe
	v_add_co_u32 v8, s2, v3, s30
	s_delay_alu instid0(VALU_DEP_1) | instskip(SKIP_1) | instid1(VALU_DEP_1)
	s_cmp_lg_u32 s2, 0
	s_add_co_ci_u32 s2, s29, s31
	v_mul_hi_u32 v15, v9, v8
	s_wait_alu 0xfffe
	v_mad_co_u64_u32 v[3:4], null, v9, s2, 0
	v_mad_co_u64_u32 v[11:12], null, v10, v8, 0
	;; [unrolled: 1-line block ×3, first 2 shown]
	s_delay_alu instid0(VALU_DEP_3) | instskip(SKIP_1) | instid1(VALU_DEP_4)
	v_add_co_u32 v3, vcc_lo, v15, v3
	s_wait_alu 0xfffd
	v_add_co_ci_u32_e32 v4, vcc_lo, 0, v4, vcc_lo
	s_delay_alu instid0(VALU_DEP_2) | instskip(SKIP_1) | instid1(VALU_DEP_2)
	v_add_co_u32 v3, vcc_lo, v3, v11
	s_wait_alu 0xfffd
	v_add_co_ci_u32_e32 v3, vcc_lo, v4, v12, vcc_lo
	s_wait_alu 0xfffd
	v_add_co_ci_u32_e32 v4, vcc_lo, 0, v14, vcc_lo
	s_delay_alu instid0(VALU_DEP_2) | instskip(SKIP_1) | instid1(VALU_DEP_2)
	v_add_co_u32 v8, vcc_lo, v3, v13
	s_wait_alu 0xfffd
	v_add_co_ci_u32_e32 v11, vcc_lo, 0, v4, vcc_lo
	s_delay_alu instid0(VALU_DEP_2) | instskip(SKIP_1) | instid1(VALU_DEP_3)
	v_mul_lo_u32 v12, s25, v8
	v_mad_co_u64_u32 v[3:4], null, s24, v8, 0
	v_mul_lo_u32 v13, s24, v11
	s_delay_alu instid0(VALU_DEP_2) | instskip(NEXT) | instid1(VALU_DEP_2)
	v_sub_co_u32 v3, vcc_lo, v9, v3
	v_add3_u32 v4, v4, v13, v12
	s_delay_alu instid0(VALU_DEP_1) | instskip(SKIP_1) | instid1(VALU_DEP_1)
	v_sub_nc_u32_e32 v12, v10, v4
	s_wait_alu 0xfffd
	v_subrev_co_ci_u32_e64 v12, s2, s25, v12, vcc_lo
	v_add_co_u32 v13, s2, v8, 2
	s_wait_alu 0xf1ff
	v_add_co_ci_u32_e64 v14, s2, 0, v11, s2
	v_sub_co_u32 v15, s2, v3, s24
	v_sub_co_ci_u32_e32 v4, vcc_lo, v10, v4, vcc_lo
	s_wait_alu 0xf1ff
	v_subrev_co_ci_u32_e64 v12, s2, 0, v12, s2
	s_delay_alu instid0(VALU_DEP_3) | instskip(NEXT) | instid1(VALU_DEP_3)
	v_cmp_le_u32_e32 vcc_lo, s24, v15
	v_cmp_eq_u32_e64 s2, s25, v4
	s_wait_alu 0xfffd
	v_cndmask_b32_e64 v15, 0, -1, vcc_lo
	v_cmp_le_u32_e32 vcc_lo, s25, v12
	s_wait_alu 0xfffd
	v_cndmask_b32_e64 v16, 0, -1, vcc_lo
	v_cmp_le_u32_e32 vcc_lo, s24, v3
	;; [unrolled: 3-line block ×3, first 2 shown]
	s_wait_alu 0xfffd
	v_cndmask_b32_e64 v17, 0, -1, vcc_lo
	v_cmp_eq_u32_e32 vcc_lo, s25, v12
	s_wait_alu 0xf1ff
	s_delay_alu instid0(VALU_DEP_2)
	v_cndmask_b32_e64 v3, v17, v3, s2
	s_wait_alu 0xfffd
	v_cndmask_b32_e32 v12, v16, v15, vcc_lo
	v_add_co_u32 v15, vcc_lo, v8, 1
	s_wait_alu 0xfffd
	v_add_co_ci_u32_e32 v16, vcc_lo, 0, v11, vcc_lo
	s_delay_alu instid0(VALU_DEP_3) | instskip(SKIP_1) | instid1(VALU_DEP_2)
	v_cmp_ne_u32_e32 vcc_lo, 0, v12
	s_wait_alu 0xfffd
	v_cndmask_b32_e32 v4, v16, v14, vcc_lo
	v_cndmask_b32_e32 v12, v15, v13, vcc_lo
	v_cmp_ne_u32_e32 vcc_lo, 0, v3
	s_wait_alu 0xfffd
	s_delay_alu instid0(VALU_DEP_3) | instskip(NEXT) | instid1(VALU_DEP_3)
	v_cndmask_b32_e32 v4, v11, v4, vcc_lo
	v_cndmask_b32_e32 v3, v8, v12, vcc_lo
.LBB0_4:                                ;   in Loop: Header=BB0_2 Depth=1
	s_wait_alu 0xfffe
	s_and_not1_saveexec_b32 s2, s26
	s_cbranch_execz .LBB0_6
; %bb.5:                                ;   in Loop: Header=BB0_2 Depth=1
	v_cvt_f32_u32_e32 v3, s24
	s_sub_co_i32 s26, 0, s24
	s_delay_alu instid0(VALU_DEP_1) | instskip(NEXT) | instid1(TRANS32_DEP_1)
	v_rcp_iflag_f32_e32 v3, v3
	v_mul_f32_e32 v3, 0x4f7ffffe, v3
	s_delay_alu instid0(VALU_DEP_1) | instskip(SKIP_1) | instid1(VALU_DEP_1)
	v_cvt_u32_f32_e32 v3, v3
	s_wait_alu 0xfffe
	v_mul_lo_u32 v4, s26, v3
	s_delay_alu instid0(VALU_DEP_1) | instskip(NEXT) | instid1(VALU_DEP_1)
	v_mul_hi_u32 v4, v3, v4
	v_add_nc_u32_e32 v3, v3, v4
	s_delay_alu instid0(VALU_DEP_1) | instskip(NEXT) | instid1(VALU_DEP_1)
	v_mul_hi_u32 v3, v9, v3
	v_mul_lo_u32 v4, v3, s24
	v_add_nc_u32_e32 v8, 1, v3
	s_delay_alu instid0(VALU_DEP_2) | instskip(NEXT) | instid1(VALU_DEP_1)
	v_sub_nc_u32_e32 v4, v9, v4
	v_subrev_nc_u32_e32 v11, s24, v4
	v_cmp_le_u32_e32 vcc_lo, s24, v4
	s_wait_alu 0xfffd
	s_delay_alu instid0(VALU_DEP_2) | instskip(NEXT) | instid1(VALU_DEP_1)
	v_dual_cndmask_b32 v4, v4, v11 :: v_dual_cndmask_b32 v3, v3, v8
	v_cmp_le_u32_e32 vcc_lo, s24, v4
	s_delay_alu instid0(VALU_DEP_2) | instskip(SKIP_2) | instid1(VALU_DEP_2)
	v_add_nc_u32_e32 v8, 1, v3
	v_mov_b32_e32 v4, v7
	s_wait_alu 0xfffd
	v_cndmask_b32_e32 v3, v3, v8, vcc_lo
.LBB0_6:                                ;   in Loop: Header=BB0_2 Depth=1
	s_wait_alu 0xfffe
	s_or_b32 exec_lo, exec_lo, s2
	v_mul_lo_u32 v8, v4, s24
	s_delay_alu instid0(VALU_DEP_2)
	v_mul_lo_u32 v13, v3, s25
	s_load_b64 s[26:27], s[18:19], 0x0
	v_mad_co_u64_u32 v[11:12], null, v3, s24, 0
	s_load_b64 s[24:25], s[16:17], 0x0
	s_add_nc_u64 s[20:21], s[20:21], 1
	s_add_nc_u64 s[16:17], s[16:17], 8
	s_wait_alu 0xfffe
	v_cmp_ge_u64_e64 s2, s[20:21], s[10:11]
	s_add_nc_u64 s[18:19], s[18:19], 8
	s_add_nc_u64 s[22:23], s[22:23], 8
	v_add3_u32 v8, v12, v13, v8
	v_sub_co_u32 v9, vcc_lo, v9, v11
	s_wait_alu 0xfffd
	s_delay_alu instid0(VALU_DEP_2) | instskip(SKIP_2) | instid1(VALU_DEP_1)
	v_sub_co_ci_u32_e32 v8, vcc_lo, v10, v8, vcc_lo
	s_and_b32 vcc_lo, exec_lo, s2
	s_wait_kmcnt 0x0
	v_mul_lo_u32 v10, s26, v8
	v_mul_lo_u32 v11, s27, v9
	v_mad_co_u64_u32 v[5:6], null, s26, v9, v[5:6]
	v_mul_lo_u32 v8, s24, v8
	v_mul_lo_u32 v12, s25, v9
	v_mad_co_u64_u32 v[1:2], null, s24, v9, v[1:2]
	s_delay_alu instid0(VALU_DEP_4) | instskip(NEXT) | instid1(VALU_DEP_2)
	v_add3_u32 v6, v11, v6, v10
	v_add3_u32 v2, v12, v2, v8
	s_wait_alu 0xfffe
	s_cbranch_vccnz .LBB0_9
; %bb.7:                                ;   in Loop: Header=BB0_2 Depth=1
	v_dual_mov_b32 v10, v4 :: v_dual_mov_b32 v9, v3
	s_branch .LBB0_2
.LBB0_8:
	v_dual_mov_b32 v1, v5 :: v_dual_mov_b32 v2, v6
	v_dual_mov_b32 v3, v9 :: v_dual_mov_b32 v4, v10
.LBB0_9:
	s_load_b64 s[0:1], s[0:1], 0x28
	v_mul_hi_u32 v8, 0x2d82d83, v0
	s_lshl_b64 s[10:11], s[10:11], 3
                                        ; implicit-def: $vgpr82
	s_wait_kmcnt 0x0
	v_cmp_gt_u64_e32 vcc_lo, s[0:1], v[3:4]
	v_cmp_le_u64_e64 s0, s[0:1], v[3:4]
	s_delay_alu instid0(VALU_DEP_1)
	s_and_saveexec_b32 s1, s0
	s_wait_alu 0xfffe
	s_xor_b32 s0, exec_lo, s1
; %bb.10:
	v_mul_u32_u24_e32 v5, 0x5a, v8
                                        ; implicit-def: $vgpr8
	s_delay_alu instid0(VALU_DEP_1)
	v_sub_nc_u32_e32 v82, v0, v5
                                        ; implicit-def: $vgpr0
                                        ; implicit-def: $vgpr5_vgpr6
; %bb.11:
	s_wait_alu 0xfffe
	s_or_saveexec_b32 s1, s0
	s_add_nc_u64 s[2:3], s[14:15], s[10:11]
                                        ; implicit-def: $vgpr63
                                        ; implicit-def: $vgpr61
                                        ; implicit-def: $vgpr13
                                        ; implicit-def: $vgpr65
                                        ; implicit-def: $vgpr71
                                        ; implicit-def: $vgpr7
                                        ; implicit-def: $vgpr59
                                        ; implicit-def: $vgpr75
                                        ; implicit-def: $vgpr11
                                        ; implicit-def: $vgpr57
                                        ; implicit-def: $vgpr79
                                        ; implicit-def: $vgpr43
                                        ; implicit-def: $vgpr67
                                        ; implicit-def: $vgpr55
                                        ; implicit-def: $vgpr41
                                        ; implicit-def: $vgpr73
                                        ; implicit-def: $vgpr53
                                        ; implicit-def: $vgpr45
                                        ; implicit-def: $vgpr69
                                        ; implicit-def: $vgpr77
                                        ; implicit-def: $vgpr26
                                        ; implicit-def: $vgpr9
                                        ; implicit-def: $vgpr18
                                        ; implicit-def: $vgpr21
                                        ; implicit-def: $vgpr30
                                        ; implicit-def: $vgpr28
                                        ; implicit-def: $vgpr16
                                        ; implicit-def: $vgpr51
                                        ; implicit-def: $vgpr81
                                        ; implicit-def: $vgpr24
	s_wait_alu 0xfffe
	s_xor_b32 exec_lo, exec_lo, s1
	s_cbranch_execz .LBB0_13
; %bb.12:
	s_add_nc_u64 s[10:11], s[12:13], s[10:11]
	v_lshlrev_b64_e32 v[5:6], 3, v[5:6]
	s_load_b64 s[10:11], s[10:11], 0x0
	s_wait_kmcnt 0x0
	v_mul_lo_u32 v7, s11, v3
	v_mul_lo_u32 v11, s10, v4
	v_mad_co_u64_u32 v[9:10], null, s10, v3, 0
	s_delay_alu instid0(VALU_DEP_1) | instskip(SKIP_1) | instid1(VALU_DEP_2)
	v_add3_u32 v10, v10, v11, v7
	v_mul_u32_u24_e32 v11, 0x5a, v8
	v_lshlrev_b64_e32 v[7:8], 3, v[9:10]
	s_delay_alu instid0(VALU_DEP_2) | instskip(NEXT) | instid1(VALU_DEP_2)
	v_sub_nc_u32_e32 v82, v0, v11
	v_add_co_u32 v0, s0, s4, v7
	s_wait_alu 0xf1ff
	s_delay_alu instid0(VALU_DEP_3) | instskip(NEXT) | instid1(VALU_DEP_3)
	v_add_co_ci_u32_e64 v7, s0, s5, v8, s0
	v_lshlrev_b32_e32 v8, 3, v82
	s_delay_alu instid0(VALU_DEP_3) | instskip(SKIP_1) | instid1(VALU_DEP_3)
	v_add_co_u32 v0, s0, v0, v5
	s_wait_alu 0xf1ff
	v_add_co_ci_u32_e64 v5, s0, v7, v6, s0
	s_delay_alu instid0(VALU_DEP_2) | instskip(SKIP_1) | instid1(VALU_DEP_2)
	v_add_co_u32 v31, s0, v0, v8
	s_wait_alu 0xf1ff
	v_add_co_ci_u32_e64 v32, s0, 0, v5, s0
	s_clause 0x1d
	global_load_b64 v[27:28], v[31:32], off offset:7920
	global_load_b64 v[23:24], v[31:32], off
	global_load_b64 v[15:16], v[31:32], off offset:720
	global_load_b64 v[20:21], v[31:32], off offset:1440
	;; [unrolled: 1-line block ×28, first 2 shown]
.LBB0_13:
	s_or_b32 exec_lo, exec_lo, s1
	s_wait_loadcnt 0x7
	v_dual_add_f32 v0, v50, v80 :: v_dual_add_f32 v5, v80, v23
	v_dual_add_f32 v19, v29, v27 :: v_dual_sub_f32 v22, v28, v30
	s_delay_alu instid0(VALU_DEP_2) | instskip(NEXT) | instid1(VALU_DEP_3)
	v_dual_sub_f32 v14, v81, v51 :: v_dual_fmac_f32 v23, -0.5, v0
	v_dual_add_f32 v0, v27, v15 :: v_dual_add_f32 v5, v50, v5
	s_wait_loadcnt 0x2
	s_delay_alu instid0(VALU_DEP_3) | instskip(NEXT) | instid1(VALU_DEP_3)
	v_dual_fmac_f32 v15, -0.5, v19 :: v_dual_add_f32 v38, v60, v12
	v_fmamk_f32 v19, v14, 0xbf5db3d7, v23
	v_dual_fmac_f32 v23, 0x3f5db3d7, v14 :: v_dual_add_f32 v32, v8, v17
	v_add_f32_e32 v0, v29, v0
	s_delay_alu instid0(VALU_DEP_4) | instskip(SKIP_2) | instid1(VALU_DEP_3)
	v_dual_add_f32 v14, v28, v16 :: v_dual_fmamk_f32 v31, v22, 0xbf5db3d7, v15
	v_dual_fmac_f32 v15, 0x3f5db3d7, v22 :: v_dual_add_f32 v22, v30, v28
	v_sub_f32_e32 v28, v18, v9
	v_dual_add_f32 v97, v30, v14 :: v_dual_add_f32 v14, v17, v20
	v_fmac_f32_e32 v20, -0.5, v32
	s_delay_alu instid0(VALU_DEP_4)
	v_fmac_f32_e32 v16, -0.5, v22
	v_sub_f32_e32 v98, v27, v29
	v_dual_add_f32 v22, v18, v21 :: v_dual_add_f32 v29, v68, v76
	v_add_f32_e32 v18, v9, v18
	v_add_f32_e32 v14, v8, v14
	v_fmamk_f32 v27, v28, 0xbf5db3d7, v20
	s_wait_loadcnt 0x1
	v_add_f32_e32 v35, v64, v70
	v_add_f32_e32 v30, v56, v78
	v_dual_fmac_f32 v21, -0.5, v18 :: v_dual_fmac_f32 v20, 0x3f5db3d7, v28
	v_add_f32_e32 v99, v9, v22
	v_add_f32_e32 v9, v76, v25
	v_dual_fmac_f32 v25, -0.5, v29 :: v_dual_sub_f32 v100, v17, v8
	v_add_f32_e32 v8, v72, v52
	v_dual_add_f32 v18, v52, v44 :: v_dual_add_f32 v33, v58, v74
	s_delay_alu instid0(VALU_DEP_4) | instskip(NEXT) | instid1(VALU_DEP_3)
	v_dual_add_f32 v28, v54, v40 :: v_dual_add_f32 v9, v68, v9
	v_fmac_f32_e32 v44, -0.5, v8
	v_sub_f32_e32 v8, v53, v73
	v_sub_f32_e32 v22, v77, v69
	v_add_f32_e32 v18, v72, v18
	s_load_b64 s[2:3], s[2:3], 0x0
	v_sub_f32_e32 v50, v80, v50
	v_fmamk_f32 v29, v8, 0xbf5db3d7, v44
	v_fmamk_f32 v17, v22, 0xbf5db3d7, v25
	v_fmac_f32_e32 v25, 0x3f5db3d7, v22
	v_add_f32_e32 v22, v66, v54
	v_fmac_f32_e32 v44, 0x3f5db3d7, v8
	v_add_f32_e32 v8, v78, v42
	v_fmac_f32_e32 v42, -0.5, v30
	v_sub_f32_e32 v30, v79, v57
	v_fmac_f32_e32 v40, -0.5, v22
	v_sub_f32_e32 v22, v55, v67
	v_add_f32_e32 v80, v53, v45
	s_delay_alu instid0(VALU_DEP_4) | instskip(SKIP_1) | instid1(VALU_DEP_4)
	v_fmamk_f32 v34, v30, 0xbf5db3d7, v42
	v_fmac_f32_e32 v42, 0x3f5db3d7, v30
	v_fmamk_f32 v32, v22, 0xbf5db3d7, v40
	v_fmac_f32_e32 v40, 0x3f5db3d7, v22
	v_add_f32_e32 v22, v56, v8
	v_add_f32_e32 v8, v74, v10
	v_sub_f32_e32 v56, v78, v56
	v_sub_f32_e32 v54, v54, v66
	s_delay_alu instid0(VALU_DEP_3) | instskip(SKIP_3) | instid1(VALU_DEP_3)
	v_add_f32_e32 v30, v58, v8
	v_add_f32_e32 v8, v70, v6
	v_sub_f32_e32 v58, v74, v58
	v_sub_f32_e32 v52, v52, v72
	v_add_f32_e32 v37, v64, v8
	v_mad_u32_u24 v8, v82, 12, 0
	v_dual_fmac_f32 v10, -0.5, v33 :: v_dual_sub_f32 v33, v75, v59
	v_dual_fmac_f32 v6, -0.5, v35 :: v_dual_sub_f32 v35, v71, v65
	s_delay_alu instid0(VALU_DEP_3) | instskip(SKIP_1) | instid1(VALU_DEP_4)
	v_add_nc_u32_e32 v105, 0x151c, v8
	v_add_nc_u32_e32 v101, 0x438, v8
	v_fmamk_f32 v36, v33, 0xbf5db3d7, v10
	s_wait_loadcnt 0x0
	v_dual_fmac_f32 v10, 0x3f5db3d7, v33 :: v_dual_add_f32 v33, v62, v60
	v_add_nc_u32_e32 v102, 0x870, v8
	v_add_nc_u32_e32 v103, 0xca8, v8
	v_add_nc_u32_e32 v104, 0x10e0, v8
	ds_store_2addr_b32 v101, v0, v31 offset1:1
	ds_store_2addr_b32 v102, v14, v27 offset1:1
	;; [unrolled: 1-line block ×4, first 2 shown]
	v_dual_fmac_f32 v12, -0.5, v33 :: v_dual_add_nc_u32 v107, 0x21c4, v8
	v_dual_sub_f32 v33, v61, v63 :: v_dual_add_nc_u32 v106, 0x1954, v8
	v_lshl_add_u32 v0, v82, 2, 0
	v_add_f32_e32 v28, v66, v28
	ds_store_2addr_b32 v8, v5, v19 offset1:1
	ds_store_b32 v8, v23 offset:8
	ds_store_b32 v8, v15 offset:1088
	;; [unrolled: 1-line block ×6, first 2 shown]
	ds_store_2addr_b32 v105, v32, v40 offset1:1
	ds_store_b32 v8, v22 offset:6480
	v_add_nc_u32_e32 v25, 0x1d8c, v8
	v_fmamk_f32 v39, v35, 0xbf5db3d7, v6
	v_dual_fmac_f32 v6, 0x3f5db3d7, v35 :: v_dual_add_f32 v35, v62, v38
	v_fmamk_f32 v38, v33, 0xbf5db3d7, v12
	v_fmac_f32_e32 v12, 0x3f5db3d7, v33
	ds_store_2addr_b32 v106, v34, v42 offset1:1
	v_add_nc_u32_e32 v108, 0x25fc, v8
	v_add_nc_u32_e32 v87, 0x2000, v0
	v_dual_add_f32 v42, v77, v26 :: v_dual_add_nc_u32 v91, 0x2400, v0
	v_sub_f32_e32 v64, v70, v64
	v_add_f32_e32 v70, v61, v13
	v_add_f32_e32 v61, v63, v61
	ds_store_b32 v8, v30 offset:7560
	ds_store_2addr_b32 v25, v36, v10 offset1:1
	ds_store_b32 v8, v37 offset:8640
	ds_store_2addr_b32 v107, v39, v6 offset1:1
	;; [unrolled: 2-line block ×3, first 2 shown]
	v_dual_add_f32 v12, v69, v77 :: v_dual_add_nc_u32 v95, 0xc00, v0
	v_dual_add_f32 v69, v69, v42 :: v_dual_add_f32 v42, v51, v81
	v_add_nc_u32_e32 v83, 0x200, v0
	s_delay_alu instid0(VALU_DEP_3)
	v_fmac_f32_e32 v26, -0.5, v12
	v_add_f32_e32 v12, v81, v24
	v_dual_fmac_f32 v13, -0.5, v61 :: v_dual_add_nc_u32 v88, 0x800, v0
	v_add_nc_u32_e32 v89, 0xa00, v0
	v_add_nc_u32_e32 v84, 0x1000, v0
	global_wb scope:SCOPE_SE
	s_wait_dscnt 0x0
	s_wait_kmcnt 0x0
	s_barrier_signal -1
	s_barrier_wait -1
	global_inv scope:SCOPE_SE
	ds_load_2addr_b32 v[9:10], v0 offset1:90
	ds_load_2addr_b32 v[5:6], v83 offset0:52 offset1:142
	ds_load_2addr_b32 v[27:28], v88 offset0:28 offset1:118
	;; [unrolled: 1-line block ×4, first 2 shown]
	v_add_nc_u32_e32 v85, 0x1e00, v0
	v_dual_add_f32 v51, v51, v12 :: v_dual_add_f32 v12, v73, v53
	v_add_f32_e32 v53, v55, v41
	v_add_f32_e32 v66, v79, v43
	v_fmac_f32_e32 v24, -0.5, v42
	v_and_b32_e32 v42, 0xff, v82
	v_sub_f32_e32 v44, v76, v68
	v_dual_fmamk_f32 v68, v98, 0x3f5db3d7, v16 :: v_dual_fmac_f32 v45, -0.5, v12
	v_add_f32_e32 v55, v67, v55
	v_add_f32_e32 v53, v67, v53
	;; [unrolled: 1-line block ×4, first 2 shown]
	v_sub_f32_e32 v60, v60, v62
	v_add_f32_e32 v66, v59, v75
	v_mul_lo_u16 v12, 0xab, v42
	v_fmamk_f32 v76, v100, 0x3f5db3d7, v21
	v_fmac_f32_e32 v21, 0xbf5db3d7, v100
	v_dual_add_f32 v72, v73, v80 :: v_dual_fmamk_f32 v61, v60, 0x3f5db3d7, v13
	v_add_f32_e32 v73, v75, v11
	v_lshrrev_b16 v12, 9, v12
	v_fmac_f32_e32 v13, 0xbf5db3d7, v60
	v_dual_fmac_f32 v11, -0.5, v66 :: v_dual_add_nc_u32 v86, 0x1200, v0
	v_dual_fmac_f32 v41, -0.5, v55 :: v_dual_add_nc_u32 v90, 0x1800, v0
	v_add_nc_u32_e32 v93, 0x1c00, v0
	s_delay_alu instid0(VALU_DEP_3)
	v_fmamk_f32 v55, v58, 0x3f5db3d7, v11
	v_fmac_f32_e32 v11, 0xbf5db3d7, v58
	v_mul_lo_u16 v58, v12, 3
	v_add_nc_u32_e32 v92, 0x400, v0
	v_add_nc_u32_e32 v94, 0x1400, v0
	;; [unrolled: 1-line block ×3, first 2 shown]
	ds_load_2addr_b32 v[37:38], v86 offset0:108 offset1:198
	ds_load_2addr_b32 v[35:36], v90 offset0:84 offset1:174
	;; [unrolled: 1-line block ×10, first 2 shown]
	v_dual_add_f32 v62, v63, v70 :: v_dual_fmamk_f32 v63, v50, 0x3f5db3d7, v24
	v_fmac_f32_e32 v24, 0xbf5db3d7, v50
	v_fmamk_f32 v50, v52, 0x3f5db3d7, v45
	v_fmac_f32_e32 v45, 0xbf5db3d7, v52
	v_fmamk_f32 v52, v54, 0x3f5db3d7, v41
	v_fmac_f32_e32 v41, 0xbf5db3d7, v54
	v_fmamk_f32 v77, v44, 0x3f5db3d7, v26
	global_wb scope:SCOPE_SE
	s_wait_dscnt 0x0
	s_barrier_signal -1
	s_barrier_wait -1
	global_inv scope:SCOPE_SE
	v_add_f32_e32 v59, v59, v73
	v_add_f32_e32 v73, v71, v7
	;; [unrolled: 1-line block ×3, first 2 shown]
	v_fmac_f32_e32 v43, -0.5, v67
	ds_store_2addr_b32 v101, v97, v68 offset1:1
	ds_store_2addr_b32 v102, v99, v76 offset1:1
	;; [unrolled: 1-line block ×4, first 2 shown]
	v_sub_nc_u16 v50, v82, v58
	v_fmac_f32_e32 v16, 0xbf5db3d7, v98
	v_fmac_f32_e32 v26, 0xbf5db3d7, v44
	v_fmamk_f32 v54, v56, 0x3f5db3d7, v43
	v_fmac_f32_e32 v43, 0xbf5db3d7, v56
	ds_store_2addr_b32 v8, v51, v63 offset1:1
	ds_store_b32 v8, v24 offset:8
	ds_store_b32 v8, v16 offset:1088
	;; [unrolled: 1-line block ×6, first 2 shown]
	ds_store_2addr_b32 v105, v52, v41 offset1:1
	ds_store_b32 v8, v57 offset:6480
	v_dual_add_f32 v65, v65, v73 :: v_dual_and_b32 v16, 0xff, v50
	v_fmac_f32_e32 v7, -0.5, v71
	ds_store_2addr_b32 v106, v54, v43 offset1:1
	v_add_nc_u32_e32 v43, 0xb4, v82
	ds_store_b32 v8, v59 offset:7560
	ds_store_2addr_b32 v25, v55, v11 offset1:1
	ds_store_b32 v8, v65 offset:8640
	v_mul_u32_u24_e32 v11, 9, v16
	v_and_b32_e32 v12, 0xffff, v12
	v_and_b32_e32 v41, 0xffff, v43
	v_fmamk_f32 v56, v64, 0x3f5db3d7, v7
	v_fmac_f32_e32 v7, 0xbf5db3d7, v64
	v_lshlrev_b32_e32 v25, 3, v11
	ds_store_2addr_b32 v107, v56, v7 offset1:1
	ds_store_b32 v8, v62 offset:9720
	ds_store_2addr_b32 v108, v61, v13 offset1:1
	global_wb scope:SCOPE_SE
	s_wait_dscnt 0x0
	s_barrier_signal -1
	s_barrier_wait -1
	global_inv scope:SCOPE_SE
	s_clause 0x1
	global_load_b128 v[50:53], v25, s[8:9]
	global_load_b128 v[54:57], v25, s[8:9] offset:16
	v_add_nc_u32_e32 v44, 0x5a, v82
	v_mul_u32_u24_e32 v8, 0xaaab, v41
	s_clause 0x1
	global_load_b128 v[58:61], v25, s[8:9] offset:32
	global_load_b128 v[65:68], v25, s[8:9] offset:48
	v_mul_u32_u24_e32 v12, 0x78, v12
	v_and_b32_e32 v45, 0xff, v44
	v_lshrrev_b32_e32 v11, 17, v8
	s_delay_alu instid0(VALU_DEP_2) | instskip(NEXT) | instid1(VALU_DEP_2)
	v_mul_lo_u16 v7, 0xab, v45
	v_mul_lo_u16 v8, v11, 3
	v_mul_u32_u24_e32 v11, 0x78, v11
	s_delay_alu instid0(VALU_DEP_3) | instskip(NEXT) | instid1(VALU_DEP_3)
	v_lshrrev_b16 v21, 9, v7
	v_sub_nc_u16 v8, v43, v8
	s_delay_alu instid0(VALU_DEP_2) | instskip(NEXT) | instid1(VALU_DEP_2)
	v_mul_lo_u16 v7, v21, 3
	v_and_b32_e32 v13, 0xffff, v8
	v_and_b32_e32 v21, 0xffff, v21
	s_delay_alu instid0(VALU_DEP_3) | instskip(NEXT) | instid1(VALU_DEP_3)
	v_sub_nc_u16 v7, v44, v7
	v_mul_u32_u24_e32 v8, 9, v13
	s_delay_alu instid0(VALU_DEP_2) | instskip(NEXT) | instid1(VALU_DEP_2)
	v_and_b32_e32 v24, 0xff, v7
	v_lshlrev_b32_e32 v8, 3, v8
	s_delay_alu instid0(VALU_DEP_2) | instskip(NEXT) | instid1(VALU_DEP_1)
	v_mul_u32_u24_e32 v7, 9, v24
	v_lshlrev_b32_e32 v7, 3, v7
	s_clause 0xa
	global_load_b128 v[69:72], v7, s[8:9]
	global_load_b128 v[73:76], v8, s[8:9]
	global_load_b128 v[77:80], v7, s[8:9] offset:16
	global_load_b128 v[97:100], v8, s[8:9] offset:16
	;; [unrolled: 1-line block ×6, first 2 shown]
	global_load_b64 v[117:118], v25, s[8:9] offset:64
	global_load_b64 v[119:120], v7, s[8:9] offset:64
	;; [unrolled: 1-line block ×3, first 2 shown]
	s_wait_loadcnt 0xe
	v_mul_f32_e32 v25, v6, v51
	ds_load_2addr_b32 v[7:8], v83 offset0:52 offset1:142
	ds_load_2addr_b32 v[123:124], v88 offset0:28 offset1:118
	;; [unrolled: 1-line block ×14, first 2 shown]
	s_wait_dscnt 0xd
	v_dual_mul_f32 v26, v27, v53 :: v_dual_mul_f32 v81, v8, v51
	s_wait_dscnt 0xc
	v_mul_f32_e32 v51, v123, v53
	s_wait_loadcnt_dscnt 0xd0b
	v_mul_f32_e32 v147, v63, v55
	v_mul_f32_e32 v53, v20, v55
	s_wait_dscnt 0xa
	v_mul_f32_e32 v55, v125, v57
	s_wait_loadcnt_dscnt 0xc09
	v_dual_mul_f32 v57, v17, v57 :: v_dual_mul_f32 v148, v128, v59
	v_mul_f32_e32 v59, v38, v59
	s_wait_dscnt 0x8
	v_mul_f32_e32 v149, v129, v61
	s_wait_loadcnt_dscnt 0xb05
	v_dual_mul_f32 v151, v135, v68 :: v_dual_mul_f32 v150, v132, v66
	v_mul_f32_e32 v66, v34, v66
	v_fmac_f32_e32 v147, v20, v54
	v_fma_f32 v20, v63, v54, -v53
	v_mul_f32_e32 v61, v35, v61
	v_fmac_f32_e32 v81, v6, v50
	v_fma_f32 v50, v8, v50, -v25
	v_fmac_f32_e32 v51, v27, v52
	v_fmac_f32_e32 v55, v17, v56
	v_fma_f32 v17, v125, v56, -v57
	v_fmac_f32_e32 v149, v35, v60
	v_fmac_f32_e32 v151, v31, v67
	v_fma_f32 v61, v129, v60, -v61
	v_lshlrev_b32_e32 v16, 2, v16
	s_wait_loadcnt 0x9
	v_dual_mul_f32 v8, v48, v70 :: v_dual_mul_f32 v63, v62, v76
	v_mul_f32_e32 v54, v124, v72
	s_wait_loadcnt 0x8
	v_mul_f32_e32 v56, v126, v80
	s_wait_loadcnt_dscnt 0x704
	v_mul_f32_e32 v57, v138, v98
	s_wait_loadcnt 0x6
	v_mul_f32_e32 v35, v39, v102
	v_fmac_f32_e32 v148, v38, v58
	v_fma_f32 v38, v128, v58, -v59
	s_wait_loadcnt 0x5
	v_mul_f32_e32 v59, v40, v106
	v_fma_f32 v27, v123, v52, -v26
	v_dual_mul_f32 v26, v133, v70 :: v_dual_fmac_f32 v57, v47, v97
	v_mul_f32_e32 v70, v18, v80
	v_fma_f32 v80, v132, v65, -v66
	v_fmac_f32_e32 v63, v19, v75
	v_fmac_f32_e32 v54, v28, v71
	v_dual_fmac_f32 v150, v34, v65 :: v_dual_mul_f32 v65, v131, v108
	v_mul_f32_e32 v6, v28, v72
	v_mul_f32_e32 v72, v137, v78
	v_dual_mul_f32 v25, v134, v74 :: v_dual_mul_f32 v68, v31, v68
	v_dual_mul_f32 v52, v49, v74 :: v_dual_mul_f32 v53, v19, v76
	v_dual_add_f32 v19, v55, v149 :: v_dual_mul_f32 v74, v46, v78
	v_mul_f32_e32 v64, v127, v100
	v_mul_f32_e32 v78, v37, v100
	;; [unrolled: 1-line block ×4, first 2 shown]
	v_fmac_f32_e32 v26, v48, v69
	v_fmac_f32_e32 v72, v46, v77
	s_wait_dscnt 0x3
	v_dual_mul_f32 v104, v139, v102 :: v_dual_fmac_f32 v25, v49, v73
	v_fma_f32 v66, v62, v75, -v53
	s_wait_loadcnt 0x4
	v_dual_fmac_f32 v65, v33, v107 :: v_dual_mul_f32 v28, v32, v112
	s_delay_alu instid0(VALU_DEP_3)
	v_fmac_f32_e32 v104, v39, v101
	v_dual_sub_f32 v39, v17, v61 :: v_dual_mul_f32 v76, v47, v98
	v_fma_f32 v98, v135, v67, -v68
	v_mul_f32_e32 v68, v33, v108
	v_fma_f32 v108, v124, v71, -v6
	v_mul_f32_e32 v6, v29, v110
	;; [unrolled: 2-line block ×3, first 2 shown]
	s_wait_dscnt 0x2
	v_mul_f32_e32 v106, v141, v110
	v_fma_f32 v77, v139, v101, -v35
	s_wait_loadcnt 0x3
	v_dual_mul_f32 v35, v142, v114 :: v_dual_sub_f32 v46, v55, v51
	v_fma_f32 v31, v134, v73, -v52
	v_fmac_f32_e32 v106, v29, v109
	v_fma_f32 v29, v141, v109, -v6
	s_delay_alu instid0(VALU_DEP_4) | instskip(SKIP_2) | instid1(VALU_DEP_3)
	v_dual_mul_f32 v102, v136, v112 :: v_dual_fmac_f32 v35, v30, v113
	v_fma_f32 v110, v133, v69, -v8
	v_fma_f32 v28, v136, v111, -v28
	v_dual_sub_f32 v109, v77, v29 :: v_dual_fmac_f32 v102, v32, v111
	v_fma_f32 v32, -0.5, v19, v9
	v_add_f32_e32 v19, v51, v151
	v_dual_add_f32 v101, v110, v75 :: v_dual_fmac_f32 v58, v40, v105
	v_fma_f32 v73, v126, v79, -v70
	v_mul_f32_e32 v6, v30, v114
	s_delay_alu instid0(VALU_DEP_4)
	v_fma_f32 v40, -0.5, v19, v9
	s_wait_dscnt 0x1
	v_dual_add_f32 v9, v9, v51 :: v_dual_mul_f32 v70, v143, v116
	v_add_f32_e32 v48, v77, v29
	v_fma_f32 v33, v142, v113, -v6
	s_wait_loadcnt 0x2
	s_delay_alu instid0(VALU_DEP_3)
	v_dual_mul_f32 v6, v23, v118 :: v_dual_add_f32 v9, v9, v55
	v_mul_f32_e32 v8, v22, v116
	v_fmac_f32_e32 v70, v22, v115
	s_wait_loadcnt_dscnt 0x100
	v_mul_f32_e32 v22, v145, v120
	v_dual_sub_f32 v116, v108, v28 :: v_dual_add_f32 v9, v9, v149
	v_fma_f32 v69, v143, v115, -v8
	v_mul_f32_e32 v8, v14, v120
	s_delay_alu instid0(VALU_DEP_4) | instskip(NEXT) | instid1(VALU_DEP_4)
	v_fmac_f32_e32 v22, v14, v119
	v_add_f32_e32 v9, v9, v151
	s_delay_alu instid0(VALU_DEP_3) | instskip(SKIP_2) | instid1(VALU_DEP_2)
	v_fma_f32 v30, v145, v119, -v8
	s_wait_loadcnt 0x0
	v_mul_f32_e32 v8, v15, v122
	v_dual_add_f32 v53, v75, v30 :: v_dual_fmac_f32 v100, v36, v103
	v_mul_f32_e32 v36, v146, v122
	v_sub_f32_e32 v62, v29, v30
	v_fmac_f32_e32 v64, v37, v99
	v_sub_f32_e32 v114, v75, v30
	s_delay_alu instid0(VALU_DEP_4) | instskip(SKIP_2) | instid1(VALU_DEP_1)
	v_fmac_f32_e32 v36, v15, v121
	v_dual_sub_f32 v15, v151, v149 :: v_dual_fmac_f32 v56, v18, v79
	v_mul_f32_e32 v18, v144, v118
	v_fmac_f32_e32 v18, v23, v117
	v_fma_f32 v23, v144, v117, -v6
	v_sub_f32_e32 v6, v27, v98
	s_delay_alu instid0(VALU_DEP_1) | instskip(NEXT) | instid1(VALU_DEP_1)
	v_dual_sub_f32 v14, v51, v55 :: v_dual_fmamk_f32 v37, v6, 0xbf737871, v32
	v_dual_add_f32 v14, v14, v15 :: v_dual_fmamk_f32 v15, v39, 0x3f737871, v40
	v_fma_f32 v67, v127, v99, -v78
	v_fma_f32 v99, -0.5, v48, v110
	s_delay_alu instid0(VALU_DEP_4)
	v_fmac_f32_e32 v37, 0xbf167918, v39
	v_fma_f32 v60, v138, v97, -v76
	v_fmac_f32_e32 v15, 0xbf167918, v6
	v_add_f32_e32 v19, v54, v102
	v_fma_f32 v76, v130, v103, -v34
	v_fmac_f32_e32 v37, 0x3e9e377a, v14
	v_sub_f32_e32 v52, v106, v22
	v_sub_f32_e32 v103, v104, v106
	;; [unrolled: 1-line block ×3, first 2 shown]
	v_fma_f32 v34, v140, v105, -v59
	v_fmac_f32_e32 v110, -0.5, v53
	v_fmac_f32_e32 v32, 0x3f737871, v6
	v_sub_f32_e32 v48, v77, v75
	v_add_f32_e32 v105, v49, v52
	ds_load_2addr_b32 v[52:53], v0 offset1:90
	v_fmamk_f32 v111, v103, 0xbf737871, v110
	v_fmac_f32_e32 v32, 0x3f167918, v39
	v_fmac_f32_e32 v110, 0x3f737871, v103
	v_sub_f32_e32 v112, v72, v22
	v_fma_f32 v59, v146, v121, -v8
	v_add_f32_e32 v71, v10, v54
	v_fmac_f32_e32 v32, 0x3e9e377a, v14
	v_add_f32_e32 v14, v17, v61
	v_fma_f32 v68, v131, v107, -v68
	v_sub_f32_e32 v47, v100, v102
	v_dual_add_f32 v107, v48, v62 :: v_dual_fmac_f32 v110, 0xbf167918, v112
	v_sub_f32_e32 v74, v73, v76
	v_fmac_f32_e32 v40, 0xbf737871, v39
	global_wb scope:SCOPE_SE
	s_wait_dscnt 0x0
	s_barrier_signal -1
	s_barrier_wait -1
	global_inv scope:SCOPE_SE
	v_fmac_f32_e32 v40, 0x3f167918, v6
	v_fma_f32 v118, -0.5, v14, v52
	v_sub_f32_e32 v14, v55, v149
	v_add_f32_e32 v8, v56, v100
	s_delay_alu instid0(VALU_DEP_1) | instskip(SKIP_3) | instid1(VALU_DEP_2)
	v_fma_f32 v78, -0.5, v8, v10
	v_add_f32_e32 v8, v104, v106
	v_dual_fmac_f32 v10, -0.5, v19 :: v_dual_sub_f32 v19, v56, v54
	v_dual_fmac_f32 v110, 0x3e9e377a, v107 :: v_dual_sub_f32 v55, v150, v18
	v_fmamk_f32 v115, v74, 0x3f737871, v10
	s_delay_alu instid0(VALU_DEP_3) | instskip(NEXT) | instid1(VALU_DEP_3)
	v_add_f32_e32 v117, v19, v47
	v_mul_f32_e32 v19, 0xbf737871, v110
	v_fma_f32 v79, -0.5, v8, v26
	v_dual_add_f32 v8, v72, v22 :: v_dual_add_f32 v97, v26, v72
	v_fmac_f32_e32 v10, 0xbf737871, v74
	s_delay_alu instid0(VALU_DEP_2) | instskip(SKIP_1) | instid1(VALU_DEP_3)
	v_dual_add_f32 v47, v27, v98 :: v_dual_fmac_f32 v26, -0.5, v8
	v_sub_f32_e32 v8, v149, v151
	v_fmac_f32_e32 v10, 0x3f167918, v116
	s_delay_alu instid0(VALU_DEP_3) | instskip(SKIP_1) | instid1(VALU_DEP_3)
	v_fmamk_f32 v113, v109, 0x3f737871, v26
	v_fmac_f32_e32 v26, 0xbf737871, v109
	v_dual_fmac_f32 v10, 0x3e9e377a, v117 :: v_dual_add_f32 v39, v46, v8
	v_sub_f32_e32 v46, v98, v61
	s_delay_alu instid0(VALU_DEP_3) | instskip(NEXT) | instid1(VALU_DEP_3)
	v_fmac_f32_e32 v26, 0x3f167918, v114
	v_fmac_f32_e32 v15, 0x3e9e377a, v39
	v_dual_fmac_f32 v40, 0x3e9e377a, v39 :: v_dual_sub_f32 v39, v27, v17
	s_delay_alu instid0(VALU_DEP_1) | instskip(NEXT) | instid1(VALU_DEP_1)
	v_dual_fmac_f32 v26, 0x3e9e377a, v105 :: v_dual_add_f32 v39, v39, v46
	v_fmac_f32_e32 v19, 0xbe9e377a, v26
	s_delay_alu instid0(VALU_DEP_1) | instskip(SKIP_4) | instid1(VALU_DEP_3)
	v_add_f32_e32 v8, v10, v19
	v_sub_f32_e32 v6, v10, v19
	v_add_f32_e32 v10, v52, v27
	v_sub_f32_e32 v19, v51, v151
	v_fma_f32 v51, -0.5, v47, v52
	v_dual_sub_f32 v47, v20, v23 :: v_dual_add_f32 v10, v10, v17
	s_delay_alu instid0(VALU_DEP_3) | instskip(SKIP_1) | instid1(VALU_DEP_3)
	v_fmamk_f32 v46, v19, 0x3f737871, v118
	v_fmac_f32_e32 v118, 0xbf737871, v19
	v_add_f32_e32 v10, v10, v61
	s_delay_alu instid0(VALU_DEP_3) | instskip(NEXT) | instid1(VALU_DEP_3)
	v_fmac_f32_e32 v46, 0x3f167918, v14
	v_fmac_f32_e32 v118, 0xbf167918, v14
	s_delay_alu instid0(VALU_DEP_3)
	v_add_f32_e32 v48, v10, v98
	v_sub_f32_e32 v10, v17, v27
	v_sub_f32_e32 v17, v61, v98
	v_fmamk_f32 v27, v14, 0xbf737871, v51
	v_fmac_f32_e32 v51, 0x3f737871, v14
	v_fmac_f32_e32 v46, 0x3e9e377a, v39
	;; [unrolled: 1-line block ×3, first 2 shown]
	v_add_f32_e32 v14, v148, v150
	v_dual_add_f32 v10, v10, v17 :: v_dual_sub_f32 v17, v147, v148
	v_sub_f32_e32 v39, v18, v150
	v_fmac_f32_e32 v51, 0xbf167918, v19
	s_delay_alu instid0(VALU_DEP_4)
	v_fma_f32 v14, -0.5, v14, v81
	v_fmac_f32_e32 v27, 0x3f167918, v19
	v_add_f32_e32 v19, v147, v18
	v_add_f32_e32 v17, v17, v39
	;; [unrolled: 1-line block ×3, first 2 shown]
	v_fmamk_f32 v49, v47, 0xbf737871, v14
	v_fmac_f32_e32 v14, 0x3f737871, v47
	v_dual_fmac_f32 v51, 0x3e9e377a, v10 :: v_dual_sub_f32 v52, v38, v80
	s_delay_alu instid0(VALU_DEP_4)
	v_add_f32_e32 v39, v39, v148
	v_fmac_f32_e32 v81, -0.5, v19
	v_fmac_f32_e32 v27, 0x3e9e377a, v10
	v_sub_f32_e32 v19, v148, v147
	v_fmac_f32_e32 v49, 0xbf167918, v52
	v_fmac_f32_e32 v14, 0x3f167918, v52
	v_dual_add_f32 v10, v39, v150 :: v_dual_fmamk_f32 v61, v52, 0x3f737871, v81
	v_fmac_f32_e32 v81, 0xbf737871, v52
	s_delay_alu instid0(VALU_DEP_4) | instskip(NEXT) | instid1(VALU_DEP_4)
	v_fmac_f32_e32 v49, 0x3e9e377a, v17
	v_fmac_f32_e32 v14, 0x3e9e377a, v17
	s_delay_alu instid0(VALU_DEP_4)
	v_add_f32_e32 v10, v10, v18
	v_sub_f32_e32 v17, v147, v18
	v_fmac_f32_e32 v115, 0xbf167918, v116
	v_dual_add_f32 v18, v38, v80 :: v_dual_add_f32 v19, v19, v55
	v_fmac_f32_e32 v61, 0xbf167918, v47
	v_fmac_f32_e32 v81, 0x3f167918, v47
	s_delay_alu instid0(VALU_DEP_4)
	v_fmac_f32_e32 v115, 0x3e9e377a, v117
	v_add_f32_e32 v47, v20, v23
	v_fma_f32 v18, -0.5, v18, v50
	v_fmac_f32_e32 v61, 0x3e9e377a, v19
	v_fmac_f32_e32 v81, 0x3e9e377a, v19
	v_sub_f32_e32 v19, v20, v38
	v_sub_f32_e32 v39, v23, v80
	v_dual_add_f32 v52, v50, v20 :: v_dual_sub_f32 v55, v148, v150
	v_fmac_f32_e32 v50, -0.5, v47
	v_fmamk_f32 v47, v17, 0x3f737871, v18
	s_delay_alu instid0(VALU_DEP_4) | instskip(NEXT) | instid1(VALU_DEP_4)
	v_add_f32_e32 v19, v19, v39
	v_dual_add_f32 v39, v52, v38 :: v_dual_sub_f32 v20, v38, v20
	v_sub_f32_e32 v38, v80, v23
	v_fmamk_f32 v52, v55, 0xbf737871, v50
	v_fmac_f32_e32 v47, 0x3f167918, v55
	v_fmac_f32_e32 v50, 0x3f737871, v55
	v_fmac_f32_e32 v18, 0xbf737871, v17
	v_add_f32_e32 v20, v20, v38
	v_fmac_f32_e32 v52, 0x3f167918, v17
	v_fmac_f32_e32 v47, 0x3e9e377a, v19
	v_dual_fmac_f32 v50, 0xbf167918, v17 :: v_dual_add_f32 v39, v39, v80
	v_fmac_f32_e32 v18, 0xbf167918, v55
	s_delay_alu instid0(VALU_DEP_4) | instskip(NEXT) | instid1(VALU_DEP_4)
	v_fmac_f32_e32 v52, 0x3e9e377a, v20
	v_mul_f32_e32 v17, 0xbf167918, v47
	v_mul_f32_e32 v38, 0x3f4f1bbd, v47
	v_dual_fmac_f32 v50, 0x3e9e377a, v20 :: v_dual_add_f32 v23, v39, v23
	v_fmac_f32_e32 v18, 0x3e9e377a, v19
	v_mul_f32_e32 v39, 0xbf737871, v52
	v_fmac_f32_e32 v17, 0x3f4f1bbd, v49
	v_fmac_f32_e32 v38, 0x3f167918, v49
	v_mul_f32_e32 v49, 0x3e9e377a, v52
	v_mul_f32_e32 v47, 0xbf737871, v50
	v_fmac_f32_e32 v39, 0x3e9e377a, v61
	v_mul_f32_e32 v52, 0xbf167918, v18
	v_mul_f32_e32 v55, 0xbf4f1bbd, v18
	v_fmac_f32_e32 v49, 0x3f737871, v61
	v_fmac_f32_e32 v47, 0xbe9e377a, v81
	v_add_f32_e32 v61, v9, v10
	v_fmac_f32_e32 v52, 0xbf4f1bbd, v14
	v_fmac_f32_e32 v55, 0x3f167918, v14
	v_sub_f32_e32 v9, v9, v10
	v_dual_sub_f32 v10, v37, v17 :: v_dual_add_f32 v19, v15, v39
	v_sub_f32_e32 v14, v15, v39
	v_add_f32_e32 v20, v40, v47
	v_sub_f32_e32 v15, v40, v47
	v_add_f32_e32 v40, v48, v23
	v_sub_f32_e32 v39, v48, v23
	v_dual_add_f32 v47, v46, v38 :: v_dual_add_f32 v48, v27, v49
	v_fmac_f32_e32 v113, 0xbf167918, v114
	v_sub_f32_e32 v23, v54, v56
	v_sub_f32_e32 v54, v54, v102
	v_dual_add_f32 v62, v37, v17 :: v_dual_sub_f32 v37, v46, v38
	v_dual_sub_f32 v38, v27, v49 :: v_dual_sub_f32 v27, v102, v100
	v_add_f32_e32 v18, v32, v52
	v_sub_f32_e32 v17, v32, v52
	v_fmamk_f32 v32, v116, 0xbf737871, v78
	v_dual_add_f32 v52, v73, v76 :: v_dual_fmac_f32 v113, 0x3e9e377a, v105
	v_dual_fmac_f32 v78, 0x3f737871, v116 :: v_dual_add_f32 v23, v23, v27
	s_delay_alu instid0(VALU_DEP_3) | instskip(NEXT) | instid1(VALU_DEP_2)
	v_dual_add_f32 v27, v71, v56 :: v_dual_fmac_f32 v32, 0xbf167918, v74
	v_dual_fmac_f32 v111, 0x3f167918, v112 :: v_dual_fmac_f32 v78, 0x3f167918, v74
	s_delay_alu instid0(VALU_DEP_4) | instskip(NEXT) | instid1(VALU_DEP_3)
	v_fma_f32 v74, -0.5, v52, v53
	v_dual_add_f32 v27, v27, v100 :: v_dual_fmac_f32 v32, 0x3e9e377a, v23
	s_delay_alu instid0(VALU_DEP_3) | instskip(NEXT) | instid1(VALU_DEP_4)
	v_fmac_f32_e32 v111, 0x3e9e377a, v107
	v_fmac_f32_e32 v78, 0x3e9e377a, v23
	s_delay_alu instid0(VALU_DEP_3) | instskip(SKIP_3) | instid1(VALU_DEP_3)
	v_dual_sub_f32 v52, v56, v100 :: v_dual_add_f32 v23, v27, v102
	v_add_f32_e32 v27, v53, v108
	v_add_f32_e32 v56, v108, v28
	v_dual_sub_f32 v71, v28, v76 :: v_dual_sub_f32 v98, v65, v70
	v_add_f32_e32 v27, v27, v73
	s_delay_alu instid0(VALU_DEP_3) | instskip(SKIP_1) | instid1(VALU_DEP_3)
	v_fmac_f32_e32 v53, -0.5, v56
	v_sub_f32_e32 v56, v73, v108
	v_add_f32_e32 v27, v27, v76
	s_delay_alu instid0(VALU_DEP_1) | instskip(SKIP_3) | instid1(VALU_DEP_3)
	v_add_f32_e32 v80, v27, v28
	v_sub_f32_e32 v27, v76, v28
	v_add_f32_e32 v28, v97, v104
	v_sub_f32_e32 v97, v67, v68
	v_dual_add_f32 v27, v56, v27 :: v_dual_mul_f32 v50, 0xbe9e377a, v50
	s_delay_alu instid0(VALU_DEP_3) | instskip(NEXT) | instid1(VALU_DEP_2)
	v_add_f32_e32 v28, v28, v106
	v_fmac_f32_e32 v50, 0x3f737871, v81
	s_delay_alu instid0(VALU_DEP_2) | instskip(NEXT) | instid1(VALU_DEP_2)
	v_add_f32_e32 v28, v28, v22
	v_add_f32_e32 v49, v51, v50
	v_dual_sub_f32 v46, v51, v50 :: v_dual_add_f32 v51, v118, v55
	v_dual_sub_f32 v50, v118, v55 :: v_dual_sub_f32 v55, v108, v73
	v_fmamk_f32 v73, v52, 0xbf737871, v53
	v_fmac_f32_e32 v53, 0x3f737871, v52
	s_delay_alu instid0(VALU_DEP_3) | instskip(SKIP_4) | instid1(VALU_DEP_2)
	v_add_f32_e32 v55, v55, v71
	v_fmamk_f32 v71, v54, 0x3f737871, v74
	v_fmac_f32_e32 v74, 0xbf737871, v54
	v_fmac_f32_e32 v73, 0x3f167918, v54
	;; [unrolled: 1-line block ×3, first 2 shown]
	v_dual_fmac_f32 v73, 0x3e9e377a, v27 :: v_dual_sub_f32 v54, v75, v77
	s_delay_alu instid0(VALU_DEP_2)
	v_fmac_f32_e32 v53, 0x3e9e377a, v27
	v_add_f32_e32 v27, v101, v77
	v_mul_f32_e32 v75, 0x3e9e377a, v111
	v_fmac_f32_e32 v71, 0x3f167918, v52
	v_fmac_f32_e32 v74, 0xbf167918, v52
	v_mul_f32_e32 v77, 0xbe9e377a, v110
	v_add_f32_e32 v27, v27, v29
	v_fmac_f32_e32 v75, 0x3f737871, v113
	v_fmac_f32_e32 v71, 0x3e9e377a, v55
	v_dual_fmac_f32 v74, 0x3e9e377a, v55 :: v_dual_sub_f32 v55, v22, v106
	v_dual_fmac_f32 v77, 0x3f737871, v26 :: v_dual_sub_f32 v52, v72, v104
	v_fmamk_f32 v72, v112, 0x3f737871, v99
	v_fmamk_f32 v56, v114, 0xbf737871, v79
	v_fmac_f32_e32 v79, 0x3f737871, v114
	s_delay_alu instid0(VALU_DEP_4) | instskip(NEXT) | instid1(VALU_DEP_4)
	v_dual_fmac_f32 v99, 0xbf737871, v112 :: v_dual_add_f32 v52, v52, v55
	v_dual_sub_f32 v55, v30, v29 :: v_dual_fmac_f32 v72, 0x3f167918, v103
	s_delay_alu instid0(VALU_DEP_4) | instskip(NEXT) | instid1(VALU_DEP_4)
	v_fmac_f32_e32 v56, 0xbf167918, v109
	v_fmac_f32_e32 v79, 0x3f167918, v109
	s_delay_alu instid0(VALU_DEP_4) | instskip(NEXT) | instid1(VALU_DEP_4)
	v_fmac_f32_e32 v99, 0xbf167918, v103
	v_add_f32_e32 v22, v54, v55
	s_delay_alu instid0(VALU_DEP_4) | instskip(NEXT) | instid1(VALU_DEP_2)
	v_fmac_f32_e32 v56, 0x3e9e377a, v52
	v_fmac_f32_e32 v72, 0x3e9e377a, v22
	s_delay_alu instid0(VALU_DEP_1) | instskip(SKIP_1) | instid1(VALU_DEP_2)
	v_mul_f32_e32 v29, 0xbf167918, v72
	v_mul_f32_e32 v72, 0x3f4f1bbd, v72
	v_fmac_f32_e32 v29, 0x3f4f1bbd, v56
	s_delay_alu instid0(VALU_DEP_2) | instskip(SKIP_4) | instid1(VALU_DEP_2)
	v_fmac_f32_e32 v72, 0x3f167918, v56
	v_add_f32_e32 v56, v53, v77
	v_sub_f32_e32 v53, v53, v77
	v_add_f32_e32 v77, v64, v65
	v_dual_fmac_f32 v79, 0x3e9e377a, v52 :: v_dual_sub_f32 v26, v32, v29
	v_fma_f32 v77, -0.5, v77, v5
	v_dual_add_f32 v52, v27, v30 :: v_dual_add_f32 v27, v32, v29
	s_delay_alu instid0(VALU_DEP_1) | instskip(SKIP_2) | instid1(VALU_DEP_1)
	v_add_f32_e32 v54, v80, v52
	v_sub_f32_e32 v52, v80, v52
	v_sub_f32_e32 v80, v66, v69
	v_fmamk_f32 v81, v80, 0xbf737871, v77
	v_fmac_f32_e32 v99, 0x3e9e377a, v22
	v_fmac_f32_e32 v77, 0x3f737871, v80
	s_delay_alu instid0(VALU_DEP_3) | instskip(NEXT) | instid1(VALU_DEP_3)
	v_fmac_f32_e32 v81, 0xbf167918, v97
	v_mul_f32_e32 v55, 0xbf167918, v99
	v_mul_f32_e32 v76, 0xbf4f1bbd, v99
	s_delay_alu instid0(VALU_DEP_4) | instskip(NEXT) | instid1(VALU_DEP_3)
	v_fmac_f32_e32 v77, 0x3f167918, v97
	v_fmac_f32_e32 v55, 0xbf4f1bbd, v79
	s_delay_alu instid0(VALU_DEP_3) | instskip(NEXT) | instid1(VALU_DEP_2)
	v_dual_fmac_f32 v76, 0x3f167918, v79 :: v_dual_sub_f32 v79, v70, v65
	v_add_f32_e32 v29, v78, v55
	v_dual_sub_f32 v32, v78, v55 :: v_dual_add_f32 v55, v71, v72
	v_sub_f32_e32 v78, v63, v64
	v_dual_sub_f32 v71, v71, v72 :: v_dual_add_f32 v72, v73, v75
	v_sub_f32_e32 v73, v73, v75
	s_delay_alu instid0(VALU_DEP_3) | instskip(SKIP_2) | instid1(VALU_DEP_3)
	v_dual_add_f32 v75, v63, v70 :: v_dual_add_f32 v78, v78, v79
	v_dual_add_f32 v79, v5, v63 :: v_dual_add_f32 v22, v23, v28
	v_sub_f32_e32 v23, v23, v28
	v_fmac_f32_e32 v5, -0.5, v75
	v_mul_f32_e32 v30, 0xbf737871, v111
	v_sub_f32_e32 v75, v64, v63
	v_add_f32_e32 v79, v79, v64
	v_sub_f32_e32 v63, v63, v70
	v_fmamk_f32 v99, v97, 0x3f737871, v5
	v_fmac_f32_e32 v5, 0xbf737871, v97
	v_dual_fmac_f32 v30, 0x3e9e377a, v113 :: v_dual_add_f32 v97, v75, v98
	v_dual_sub_f32 v64, v64, v65 :: v_dual_fmac_f32 v81, 0x3e9e377a, v78
	s_delay_alu instid0(VALU_DEP_2)
	v_dual_fmac_f32 v5, 0x3f167918, v80 :: v_dual_add_f32 v28, v115, v30
	v_dual_fmac_f32 v99, 0xbf167918, v80 :: v_dual_sub_f32 v30, v115, v30
	v_add_f32_e32 v75, v74, v76
	v_sub_f32_e32 v74, v74, v76
	v_add_f32_e32 v76, v79, v65
	v_add_f32_e32 v79, v67, v68
	;; [unrolled: 1-line block ×3, first 2 shown]
	v_fmac_f32_e32 v77, 0x3e9e377a, v78
	v_add_f32_e32 v78, v7, v66
	v_sub_f32_e32 v80, v69, v68
	v_fma_f32 v79, -0.5, v79, v7
	v_dual_fmac_f32 v7, -0.5, v65 :: v_dual_add_f32 v76, v76, v70
	v_sub_f32_e32 v70, v66, v67
	v_dual_add_f32 v78, v78, v67 :: v_dual_sub_f32 v65, v67, v66
	s_delay_alu instid0(VALU_DEP_3) | instskip(NEXT) | instid1(VALU_DEP_3)
	v_fmamk_f32 v67, v64, 0xbf737871, v7
	v_dual_fmac_f32 v99, 0x3e9e377a, v97 :: v_dual_add_f32 v70, v70, v80
	v_fmamk_f32 v80, v63, 0x3f737871, v79
	v_fmac_f32_e32 v79, 0xbf737871, v63
	s_delay_alu instid0(VALU_DEP_4)
	v_fmac_f32_e32 v67, 0x3f167918, v63
	v_fmac_f32_e32 v7, 0x3f737871, v64
	v_add_f32_e32 v78, v78, v68
	v_sub_f32_e32 v68, v68, v69
	v_fmac_f32_e32 v80, 0x3f167918, v64
	v_fmac_f32_e32 v79, 0xbf167918, v64
	;; [unrolled: 1-line block ×3, first 2 shown]
	v_dual_add_f32 v63, v57, v36 :: v_dual_add_f32 v66, v78, v69
	v_dual_add_f32 v64, v65, v68 :: v_dual_add_f32 v65, v58, v35
	v_dual_sub_f32 v68, v57, v58 :: v_dual_sub_f32 v69, v36, v35
	v_fmac_f32_e32 v5, 0x3e9e377a, v97
	v_fmac_f32_e32 v79, 0x3e9e377a, v70
	s_delay_alu instid0(VALU_DEP_4)
	v_fma_f32 v65, -0.5, v65, v25
	v_sub_f32_e32 v97, v58, v57
	v_add_f32_e32 v68, v68, v69
	v_add_f32_e32 v69, v25, v57
	v_fmac_f32_e32 v25, -0.5, v63
	v_dual_sub_f32 v63, v34, v33 :: v_dual_fmac_f32 v80, 0x3e9e377a, v70
	v_sub_f32_e32 v98, v35, v36
	v_dual_sub_f32 v70, v60, v59 :: v_dual_sub_f32 v57, v57, v36
	s_delay_alu instid0(VALU_DEP_3) | instskip(SKIP_2) | instid1(VALU_DEP_4)
	v_fmamk_f32 v100, v63, 0x3f737871, v25
	v_fmac_f32_e32 v25, 0xbf737871, v63
	v_fmac_f32_e32 v67, 0x3e9e377a, v64
	v_fmamk_f32 v78, v70, 0xbf737871, v65
	v_fmac_f32_e32 v65, 0x3f737871, v70
	s_delay_alu instid0(VALU_DEP_2) | instskip(NEXT) | instid1(VALU_DEP_2)
	v_fmac_f32_e32 v78, 0xbf167918, v63
	v_fmac_f32_e32 v65, 0x3f167918, v63
	v_add_f32_e32 v63, v97, v98
	v_fmac_f32_e32 v100, 0xbf167918, v70
	v_fmac_f32_e32 v25, 0x3f167918, v70
	;; [unrolled: 1-line block ×3, first 2 shown]
	v_dual_fmac_f32 v65, 0x3e9e377a, v68 :: v_dual_add_f32 v64, v34, v33
	s_delay_alu instid0(VALU_DEP_4) | instskip(NEXT) | instid1(VALU_DEP_4)
	v_fmac_f32_e32 v100, 0x3e9e377a, v63
	v_fmac_f32_e32 v25, 0x3e9e377a, v63
	v_dual_sub_f32 v63, v58, v35 :: v_dual_add_f32 v58, v69, v58
	v_fmac_f32_e32 v78, 0x3e9e377a, v68
	v_add_f32_e32 v68, v60, v59
	v_fma_f32 v64, -0.5, v64, v31
	v_dual_add_f32 v70, v31, v60 :: v_dual_sub_f32 v69, v33, v59
	s_delay_alu instid0(VALU_DEP_3) | instskip(NEXT) | instid1(VALU_DEP_3)
	v_fmac_f32_e32 v31, -0.5, v68
	v_dual_sub_f32 v68, v34, v60 :: v_dual_fmamk_f32 v101, v57, 0x3f737871, v64
	v_sub_f32_e32 v98, v59, v33
	s_delay_alu instid0(VALU_DEP_3) | instskip(SKIP_1) | instid1(VALU_DEP_4)
	v_fmamk_f32 v97, v63, 0xbf737871, v31
	v_fmac_f32_e32 v31, 0x3f737871, v63
	v_dual_fmac_f32 v101, 0x3f167918, v63 :: v_dual_sub_f32 v60, v60, v34
	v_dual_add_f32 v35, v58, v35 :: v_dual_add_f32 v68, v68, v69
	s_delay_alu instid0(VALU_DEP_3) | instskip(SKIP_1) | instid1(VALU_DEP_3)
	v_dual_fmac_f32 v31, 0xbf167918, v57 :: v_dual_add_f32 v34, v70, v34
	v_fmac_f32_e32 v97, 0x3f167918, v57
	v_dual_add_f32 v35, v35, v36 :: v_dual_add_f32 v58, v60, v98
	s_delay_alu instid0(VALU_DEP_3) | instskip(NEXT) | instid1(VALU_DEP_4)
	v_fmac_f32_e32 v31, 0x3e9e377a, v68
	v_add_f32_e32 v33, v34, v33
	s_delay_alu instid0(VALU_DEP_4) | instskip(NEXT) | instid1(VALU_DEP_4)
	v_fmac_f32_e32 v97, 0x3e9e377a, v68
	v_add_f32_e32 v69, v76, v35
	v_fmac_f32_e32 v101, 0x3e9e377a, v58
	v_mul_f32_e32 v34, 0xbf737871, v31
	v_dual_fmac_f32 v64, 0xbf737871, v57 :: v_dual_add_f32 v57, v33, v59
	v_mul_f32_e32 v70, 0x3e9e377a, v97
	s_delay_alu instid0(VALU_DEP_3) | instskip(NEXT) | instid1(VALU_DEP_3)
	v_dual_mul_f32 v31, 0xbe9e377a, v31 :: v_dual_fmac_f32 v34, 0xbe9e377a, v25
	v_fmac_f32_e32 v64, 0xbf167918, v63
	v_dual_mul_f32 v36, 0xbf167918, v101 :: v_dual_sub_f32 v35, v76, v35
	s_delay_alu instid0(VALU_DEP_3) | instskip(NEXT) | instid1(VALU_DEP_4)
	v_dual_fmac_f32 v70, 0x3f737871, v100 :: v_dual_fmac_f32 v31, 0x3f737871, v25
	v_add_f32_e32 v33, v5, v34
	s_delay_alu instid0(VALU_DEP_4) | instskip(SKIP_4) | instid1(VALU_DEP_2)
	v_fmac_f32_e32 v64, 0x3e9e377a, v58
	v_sub_f32_e32 v5, v5, v34
	v_fmac_f32_e32 v36, 0x3f4f1bbd, v78
	v_mul_f32_e32 v58, 0x3f4f1bbd, v101
	v_dual_mul_f32 v34, 0xbf737871, v97 :: v_dual_add_f32 v59, v67, v70
	v_dual_add_f32 v97, v81, v36 :: v_dual_fmac_f32 v58, 0x3f167918, v78
	v_mul_f32_e32 v78, 0xbf4f1bbd, v64
	s_delay_alu instid0(VALU_DEP_2) | instskip(NEXT) | instid1(VALU_DEP_4)
	v_dual_sub_f32 v36, v81, v36 :: v_dual_add_f32 v63, v80, v58
	v_fmac_f32_e32 v34, 0x3e9e377a, v100
	v_mul_f32_e32 v68, 0xbf167918, v64
	s_delay_alu instid0(VALU_DEP_4) | instskip(SKIP_1) | instid1(VALU_DEP_4)
	v_fmac_f32_e32 v78, 0x3f167918, v65
	v_add_f32_e32 v60, v66, v57
	v_dual_sub_f32 v64, v66, v57 :: v_dual_add_f32 v25, v99, v34
	s_delay_alu instid0(VALU_DEP_4)
	v_dual_fmac_f32 v68, 0xbf4f1bbd, v65 :: v_dual_add_f32 v65, v7, v31
	v_sub_f32_e32 v57, v80, v58
	v_sub_f32_e32 v58, v67, v70
	v_add3_u32 v70, 0, v12, v16
	v_mul_u32_u24_e32 v12, 0x78, v21
	v_lshlrev_b32_e32 v16, 2, v24
	ds_store_2addr_b32 v70, v61, v62 offset1:3
	ds_store_2addr_b32 v70, v19, v20 offset0:6 offset1:9
	v_add_f32_e32 v98, v77, v68
	v_add3_u32 v61, 0, v12, v16
	v_lshlrev_b32_e32 v12, 2, v13
	v_sub_f32_e32 v34, v99, v34
	v_sub_f32_e32 v68, v77, v68
	ds_store_2addr_b32 v70, v18, v9 offset0:12 offset1:15
	ds_store_2addr_b32 v70, v10, v14 offset0:18 offset1:21
	;; [unrolled: 1-line block ×3, first 2 shown]
	ds_store_2addr_b32 v61, v22, v27 offset1:3
	v_sub_f32_e32 v7, v7, v31
	v_add3_u32 v62, 0, v11, v12
	ds_store_2addr_b32 v61, v28, v8 offset0:6 offset1:9
	ds_store_2addr_b32 v61, v29, v23 offset0:12 offset1:15
	;; [unrolled: 1-line block ×4, first 2 shown]
	ds_store_2addr_b32 v62, v69, v97 offset1:3
	ds_store_2addr_b32 v62, v25, v33 offset0:6 offset1:9
	ds_store_2addr_b32 v62, v98, v35 offset0:12 offset1:15
	;; [unrolled: 1-line block ×4, first 2 shown]
	v_mul_lo_u16 v8, 0x89, v42
	global_wb scope:SCOPE_SE
	s_wait_dscnt 0x0
	s_barrier_signal -1
	s_barrier_wait -1
	global_inv scope:SCOPE_SE
	v_lshrrev_b16 v42, 12, v8
	v_mul_lo_u16 v8, 0x89, v45
	ds_load_2addr_b32 v[9:10], v0 offset1:90
	ds_load_2addr_b32 v[5:6], v83 offset0:52 offset1:142
	ds_load_2addr_b32 v[35:36], v88 offset0:28 offset1:118
	;; [unrolled: 1-line block ×14, first 2 shown]
	global_wb scope:SCOPE_SE
	s_wait_dscnt 0x0
	s_barrier_signal -1
	s_barrier_wait -1
	global_inv scope:SCOPE_SE
	ds_store_2addr_b32 v70, v40, v47 offset1:3
	ds_store_2addr_b32 v70, v48, v49 offset0:6 offset1:9
	ds_store_2addr_b32 v70, v51, v39 offset0:12 offset1:15
	ds_store_2addr_b32 v70, v37, v38 offset0:18 offset1:21
	ds_store_2addr_b32 v70, v46, v50 offset0:24 offset1:27
	ds_store_2addr_b32 v61, v54, v55 offset1:3
	ds_store_2addr_b32 v61, v72, v56 offset0:6 offset1:9
	v_mul_lo_u16 v38, v42, 30
	v_lshrrev_b16 v37, 12, v8
	v_mul_u32_u24_e32 v39, 0x8889, v41
	v_sub_f32_e32 v67, v79, v78
	ds_store_2addr_b32 v61, v75, v52 offset0:12 offset1:15
	ds_store_2addr_b32 v61, v71, v73 offset0:18 offset1:21
	;; [unrolled: 1-line block ×3, first 2 shown]
	v_sub_nc_u16 v8, v82, v38
	v_mul_lo_u16 v40, v37, 30
	v_lshrrev_b32_e32 v39, 20, v39
	ds_store_2addr_b32 v62, v7, v67 offset0:24 offset1:27
	ds_store_2addr_b32 v62, v60, v63 offset1:3
	v_and_b32_e32 v38, 0xff, v8
	v_sub_nc_u16 v8, v44, v40
	v_mul_lo_u16 v41, v39, 30
	ds_store_2addr_b32 v62, v59, v65 offset0:6 offset1:9
	ds_store_2addr_b32 v62, v57, v58 offset0:18 offset1:21
	v_mul_u32_u24_e32 v7, 9, v38
	v_and_b32_e32 v40, 0xff, v8
	v_sub_nc_u16 v8, v43, v41
	v_and_b32_e32 v42, 0xffff, v42
	v_and_b32_e32 v37, 0xffff, v37
	v_lshlrev_b32_e32 v7, 3, v7
	v_mul_u32_u24_e32 v49, 9, v40
	v_dual_add_f32 v66, v79, v78 :: v_dual_and_b32 v41, 0xffff, v8
	v_lshlrev_b32_e32 v43, 1, v43
	s_delay_alu instid0(VALU_DEP_3)
	v_lshlrev_b32_e32 v8, 3, v49
	ds_store_2addr_b32 v62, v66, v64 offset0:12 offset1:15
	global_wb scope:SCOPE_SE
	s_wait_dscnt 0x0
	s_barrier_signal -1
	s_barrier_wait -1
	global_inv scope:SCOPE_SE
	s_clause 0x1
	global_load_b128 v[45:48], v7, s[8:9] offset:216
	global_load_b128 v[52:55], v8, s[8:9] offset:216
	v_mul_u32_u24_e32 v49, 9, v41
	s_delay_alu instid0(VALU_DEP_1)
	v_lshlrev_b32_e32 v51, 3, v49
	s_clause 0xc
	global_load_b128 v[57:60], v51, s[8:9] offset:216
	global_load_b128 v[61:64], v7, s[8:9] offset:232
	;; [unrolled: 1-line block ×10, first 2 shown]
	global_load_b64 v[49:50], v7, s[8:9] offset:280
	global_load_b64 v[113:114], v8, s[8:9] offset:280
	global_load_b64 v[115:116], v51, s[8:9] offset:280
	ds_load_2addr_b32 v[7:8], v83 offset0:52 offset1:142
	ds_load_2addr_b32 v[117:118], v88 offset0:28 offset1:118
	;; [unrolled: 1-line block ×4, first 2 shown]
	s_wait_loadcnt_dscnt 0xd02
	v_dual_mul_f32 v123, v117, v48 :: v_dual_mul_f32 v124, v118, v55
	v_mul_f32_e32 v48, v35, v48
	s_wait_dscnt 0x1
	v_mul_f32_e32 v51, v119, v53
	v_mul_f32_e32 v81, v8, v46
	v_fmac_f32_e32 v123, v35, v47
	v_mul_f32_e32 v35, v36, v55
	v_fmac_f32_e32 v124, v36, v54
	;; [unrolled: 2-line block ×3, first 2 shown]
	v_fmac_f32_e32 v81, v6, v45
	v_fma_f32 v125, v118, v54, -v35
	s_wait_loadcnt 0xc
	v_mul_f32_e32 v35, v120, v58
	v_fma_f32 v52, v119, v52, -v36
	s_wait_loadcnt_dscnt 0xb00
	v_mul_f32_e32 v119, v122, v62
	v_mul_f32_e32 v46, v6, v46
	;; [unrolled: 1-line block ×3, first 2 shown]
	v_dual_fmac_f32 v35, v34, v57 :: v_dual_mul_f32 v58, v121, v60
	s_delay_alu instid0(VALU_DEP_4) | instskip(NEXT) | instid1(VALU_DEP_4)
	v_fmac_f32_e32 v119, v32, v61
	v_fma_f32 v6, v8, v45, -v46
	ds_load_2addr_b32 v[45:46], v84 offset0:56 offset1:146
	v_fma_f32 v8, v117, v47, -v48
	ds_load_2addr_b32 v[47:48], v86 offset0:108 offset1:198
	v_mul_f32_e32 v34, v31, v60
	ds_load_2addr_b32 v[53:54], v90 offset0:84 offset1:174
	v_fma_f32 v33, v120, v57, -v55
	ds_load_2addr_b32 v[55:56], v87 offset0:112 offset1:202
	v_fmac_f32_e32 v58, v31, v59
	v_fma_f32 v59, v121, v59, -v34
	v_mul_f32_e32 v34, v29, v64
	ds_load_2addr_b32 v[117:118], v93 offset0:8 offset1:98
	v_mul_f32_e32 v36, v32, v62
	ds_load_2addr_b32 v[31:32], v95 offset0:132 offset1:222
	v_fma_f32 v121, v122, v61, -v36
	s_wait_dscnt 0x5
	v_mul_f32_e32 v120, v45, v64
	v_fma_f32 v45, v45, v63, -v34
	s_wait_loadcnt_dscnt 0xa04
	v_mul_f32_e32 v122, v48, v66
	v_mul_f32_e32 v34, v23, v68
	v_fmac_f32_e32 v120, v29, v63
	ds_load_2addr_b32 v[63:64], v94 offset0:160 offset1:250
	s_wait_dscnt 0x4
	v_dual_mul_f32 v29, v26, v66 :: v_dual_mul_f32 v66, v53, v68
	v_fmac_f32_e32 v122, v26, v65
	s_wait_loadcnt_dscnt 0x903
	v_mul_f32_e32 v68, v55, v72
	s_delay_alu instid0(VALU_DEP_3) | instskip(SKIP_2) | instid1(VALU_DEP_3)
	v_fma_f32 v26, v48, v65, -v29
	s_wait_loadcnt_dscnt 0x701
	v_dual_mul_f32 v29, v21, v72 :: v_dual_mul_f32 v36, v32, v78
	v_fmac_f32_e32 v68, v21, v71
	s_wait_loadcnt 0x5
	v_mul_f32_e32 v72, v56, v104
	s_delay_alu instid0(VALU_DEP_3) | instskip(SKIP_4) | instid1(VALU_DEP_3)
	v_fma_f32 v21, v55, v71, -v29
	s_wait_loadcnt_dscnt 0x400
	v_dual_mul_f32 v55, v64, v106 :: v_dual_fmac_f32 v66, v23, v67
	v_mul_f32_e32 v48, v118, v70
	v_dual_mul_f32 v23, v16, v70 :: v_dual_mul_f32 v70, v46, v76
	v_fmac_f32_e32 v55, v20, v105
	s_delay_alu instid0(VALU_DEP_3) | instskip(SKIP_1) | instid1(VALU_DEP_4)
	v_fmac_f32_e32 v48, v16, v69
	v_mul_f32_e32 v16, v30, v76
	v_fmac_f32_e32 v70, v30, v75
	ds_load_2addr_b32 v[29:30], v85 offset0:60 offset1:150
	v_fma_f32 v69, v118, v69, -v23
	v_mul_f32_e32 v23, v28, v78
	v_fma_f32 v71, v46, v75, -v16
	v_mul_f32_e32 v75, v31, v74
	v_mul_f32_e32 v16, v27, v74
	s_delay_alu instid0(VALU_DEP_2) | instskip(NEXT) | instid1(VALU_DEP_2)
	v_fmac_f32_e32 v75, v27, v73
	v_fma_f32 v27, v31, v73, -v16
	v_mul_f32_e32 v16, v25, v80
	s_delay_alu instid0(VALU_DEP_1)
	v_fma_f32 v61, v47, v79, -v16
	v_mul_f32_e32 v16, v19, v98
	s_wait_dscnt 0x0
	v_mul_f32_e32 v73, v29, v102
	v_fma_f32 v67, v53, v67, -v34
	v_fma_f32 v34, v32, v77, -v23
	v_mul_f32_e32 v32, v17, v102
	v_fma_f32 v74, v63, v97, -v16
	v_fmac_f32_e32 v73, v17, v101
	ds_load_2addr_b32 v[16:17], v96 offset0:88 offset1:178
	v_mul_f32_e32 v23, v24, v100
	v_fma_f32 v29, v29, v101, -v32
	s_delay_alu instid0(VALU_DEP_2) | instskip(SKIP_4) | instid1(VALU_DEP_3)
	v_fma_f32 v31, v54, v99, -v23
	s_wait_loadcnt_dscnt 0x0
	v_mul_f32_e32 v57, v17, v116
	v_mul_f32_e32 v60, v47, v80
	v_fmac_f32_e32 v36, v28, v77
	v_dual_mul_f32 v28, v54, v100 :: v_dual_fmac_f32 v57, v12, v115
	s_delay_alu instid0(VALU_DEP_3) | instskip(SKIP_1) | instid1(VALU_DEP_2)
	v_dual_fmac_f32 v60, v25, v79 :: v_dual_mul_f32 v25, v63, v98
	v_dual_mul_f32 v63, v117, v108 :: v_dual_fmac_f32 v72, v22, v103
	v_fmac_f32_e32 v25, v19, v97
	s_delay_alu instid0(VALU_DEP_4)
	v_dual_mul_f32 v19, v22, v104 :: v_dual_fmac_f32 v28, v24, v99
	ds_load_2addr_b32 v[23:24], v91 offset0:36 offset1:126
	v_mul_f32_e32 v22, v15, v108
	v_fmac_f32_e32 v63, v15, v107
	v_fma_f32 v76, v56, v103, -v19
	v_mul_f32_e32 v56, v30, v110
	v_mul_f32_e32 v19, v20, v106
	;; [unrolled: 1-line block ×3, first 2 shown]
	s_delay_alu instid0(VALU_DEP_3) | instskip(SKIP_1) | instid1(VALU_DEP_4)
	v_fmac_f32_e32 v56, v18, v109
	v_mul_f32_e32 v18, v13, v112
	v_fma_f32 v53, v64, v105, -v19
	s_delay_alu instid0(VALU_DEP_4) | instskip(SKIP_1) | instid1(VALU_DEP_1)
	v_fma_f32 v32, v30, v109, -v15
	v_mul_f32_e32 v15, v11, v114
	v_fma_f32 v30, v16, v113, -v15
	s_wait_dscnt 0x0
	v_mul_f32_e32 v65, v23, v112
	v_fma_f32 v64, v23, v111, -v18
	v_mul_f32_e32 v23, v16, v114
	v_mul_f32_e32 v19, v24, v50
	;; [unrolled: 1-line block ×3, first 2 shown]
	v_add_f32_e32 v16, v123, v68
	s_delay_alu instid0(VALU_DEP_4)
	v_dual_mul_f32 v20, v14, v50 :: v_dual_fmac_f32 v23, v11, v113
	ds_load_2addr_b32 v[11:12], v0 offset1:90
	v_dual_fmac_f32 v19, v14, v49 :: v_dual_add_f32 v14, v120, v66
	v_fma_f32 v54, v17, v115, -v18
	v_sub_f32_e32 v17, v45, v67
	v_fma_f32 v46, -0.5, v16, v9
	v_fmac_f32_e32 v65, v13, v111
	v_fma_f32 v13, v24, v49, -v20
	v_fma_f32 v24, -0.5, v14, v9
	s_delay_alu instid0(VALU_DEP_4) | instskip(SKIP_2) | instid1(VALU_DEP_3)
	v_dual_sub_f32 v14, v8, v21 :: v_dual_fmamk_f32 v47, v17, 0x3f737871, v46
	v_fmac_f32_e32 v46, 0xbf737871, v17
	v_sub_f32_e32 v18, v123, v120
	v_dual_sub_f32 v20, v68, v66 :: v_dual_fmamk_f32 v15, v14, 0xbf737871, v24
	v_fmac_f32_e32 v24, 0x3f737871, v14
	v_fmac_f32_e32 v47, 0xbf167918, v14
	;; [unrolled: 1-line block ×3, first 2 shown]
	v_add_f32_e32 v14, v45, v67
	v_add_f32_e32 v16, v18, v20
	v_sub_f32_e32 v20, v66, v68
	v_fma_f32 v62, v117, v107, -v22
	v_add_f32_e32 v9, v9, v123
	s_wait_dscnt 0x0
	v_fma_f32 v49, -0.5, v14, v11
	v_sub_f32_e32 v14, v120, v66
	v_dual_sub_f32 v18, v120, v123 :: v_dual_fmac_f32 v15, 0xbf167918, v17
	v_fmac_f32_e32 v24, 0x3f167918, v17
	v_sub_f32_e32 v22, v21, v67
	v_add_f32_e32 v9, v9, v120
	s_delay_alu instid0(VALU_DEP_4) | instskip(SKIP_2) | instid1(VALU_DEP_4)
	v_dual_add_f32 v17, v18, v20 :: v_dual_sub_f32 v20, v8, v45
	v_sub_f32_e32 v18, v123, v68
	v_fmac_f32_e32 v15, 0x3e9e377a, v16
	v_add_f32_e32 v9, v9, v66
	s_delay_alu instid0(VALU_DEP_4)
	v_fmac_f32_e32 v47, 0x3e9e377a, v17
	v_dual_fmac_f32 v46, 0x3e9e377a, v17 :: v_dual_add_f32 v17, v20, v22
	v_add_f32_e32 v20, v8, v21
	v_fmac_f32_e32 v24, 0x3e9e377a, v16
	v_add_f32_e32 v16, v11, v8
	v_fmamk_f32 v50, v18, 0x3f737871, v49
	v_dual_fmac_f32 v49, 0xbf737871, v18 :: v_dual_sub_f32 v8, v45, v8
	v_fma_f32 v66, -0.5, v20, v11
	v_sub_f32_e32 v11, v67, v21
	v_dual_add_f32 v9, v9, v68 :: v_dual_add_f32 v16, v16, v45
	v_fmac_f32_e32 v50, 0x3f167918, v14
	s_delay_alu instid0(VALU_DEP_3) | instskip(NEXT) | instid1(VALU_DEP_3)
	v_dual_fmac_f32 v49, 0xbf167918, v14 :: v_dual_add_f32 v8, v8, v11
	v_dual_add_f32 v11, v122, v48 :: v_dual_add_f32 v16, v16, v67
	s_delay_alu instid0(VALU_DEP_3) | instskip(NEXT) | instid1(VALU_DEP_3)
	v_fmac_f32_e32 v50, 0x3e9e377a, v17
	v_fmac_f32_e32 v49, 0x3e9e377a, v17
	v_sub_f32_e32 v17, v121, v13
	s_delay_alu instid0(VALU_DEP_4)
	v_fma_f32 v11, -0.5, v11, v81
	v_add_f32_e32 v45, v16, v21
	v_fmamk_f32 v67, v14, 0xbf737871, v66
	v_fmac_f32_e32 v66, 0x3f737871, v14
	v_sub_f32_e32 v14, v119, v122
	v_sub_f32_e32 v16, v19, v48
	v_dual_fmamk_f32 v20, v17, 0xbf737871, v11 :: v_dual_sub_f32 v21, v26, v69
	v_fmac_f32_e32 v67, 0x3f167918, v18
	v_fmac_f32_e32 v66, 0xbf167918, v18
	s_delay_alu instid0(VALU_DEP_4)
	v_add_f32_e32 v14, v14, v16
	v_add_f32_e32 v16, v81, v119
	v_fmac_f32_e32 v20, 0xbf167918, v21
	v_fmac_f32_e32 v67, 0x3e9e377a, v8
	;; [unrolled: 1-line block ×3, first 2 shown]
	v_dual_sub_f32 v22, v48, v19 :: v_dual_fmac_f32 v11, 0x3f737871, v17
	s_delay_alu instid0(VALU_DEP_4)
	v_fmac_f32_e32 v20, 0x3e9e377a, v14
	v_add_f32_e32 v18, v119, v19
	v_add_f32_e32 v16, v16, v122
	global_wb scope:SCOPE_SE
	v_fmac_f32_e32 v11, 0x3f167918, v21
	s_barrier_signal -1
	v_dual_fmac_f32 v81, -0.5, v18 :: v_dual_sub_f32 v18, v122, v119
	v_add_f32_e32 v8, v16, v48
	s_delay_alu instid0(VALU_DEP_3) | instskip(NEXT) | instid1(VALU_DEP_3)
	v_dual_add_f32 v16, v26, v69 :: v_dual_fmac_f32 v11, 0x3e9e377a, v14
	v_fmamk_f32 v68, v21, 0x3f737871, v81
	s_delay_alu instid0(VALU_DEP_4) | instskip(NEXT) | instid1(VALU_DEP_4)
	v_dual_fmac_f32 v81, 0xbf737871, v21 :: v_dual_add_f32 v18, v18, v22
	v_add_f32_e32 v8, v8, v19
	v_sub_f32_e32 v14, v119, v19
	s_delay_alu instid0(VALU_DEP_4) | instskip(NEXT) | instid1(VALU_DEP_4)
	v_fmac_f32_e32 v68, 0xbf167918, v17
	v_fmac_f32_e32 v81, 0x3f167918, v17
	v_sub_f32_e32 v17, v122, v48
	v_sub_f32_e32 v19, v121, v26
	s_delay_alu instid0(VALU_DEP_4) | instskip(NEXT) | instid1(VALU_DEP_4)
	v_dual_sub_f32 v21, v13, v69 :: v_dual_fmac_f32 v68, 0x3e9e377a, v18
	v_dual_fmac_f32 v81, 0x3e9e377a, v18 :: v_dual_add_f32 v18, v121, v13
	v_fma_f32 v22, -0.5, v16, v6
	v_add_f32_e32 v16, v6, v121
	v_sub_f32_e32 v48, v69, v13
	s_delay_alu instid0(VALU_DEP_4) | instskip(SKIP_1) | instid1(VALU_DEP_4)
	v_dual_add_f32 v19, v19, v21 :: v_dual_fmac_f32 v6, -0.5, v18
	v_sub_f32_e32 v18, v26, v121
	v_dual_fmamk_f32 v21, v14, 0x3f737871, v22 :: v_dual_add_f32 v16, v16, v26
	v_fmac_f32_e32 v22, 0xbf737871, v14
	s_delay_alu instid0(VALU_DEP_4) | instskip(SKIP_1) | instid1(VALU_DEP_4)
	v_fmamk_f32 v26, v17, 0xbf737871, v6
	v_fmac_f32_e32 v6, 0x3f737871, v17
	v_dual_add_f32 v18, v18, v48 :: v_dual_fmac_f32 v21, 0x3f167918, v17
	s_delay_alu instid0(VALU_DEP_4) | instskip(NEXT) | instid1(VALU_DEP_4)
	v_fmac_f32_e32 v22, 0xbf167918, v17
	v_fmac_f32_e32 v26, 0x3f167918, v14
	s_delay_alu instid0(VALU_DEP_4) | instskip(NEXT) | instid1(VALU_DEP_4)
	v_fmac_f32_e32 v6, 0xbf167918, v14
	v_dual_add_f32 v16, v16, v69 :: v_dual_fmac_f32 v21, 0x3e9e377a, v19
	s_delay_alu instid0(VALU_DEP_4) | instskip(NEXT) | instid1(VALU_DEP_4)
	v_fmac_f32_e32 v22, 0x3e9e377a, v19
	v_fmac_f32_e32 v26, 0x3e9e377a, v18
	s_delay_alu instid0(VALU_DEP_4) | instskip(NEXT) | instid1(VALU_DEP_4)
	v_fmac_f32_e32 v6, 0x3e9e377a, v18
	v_add_f32_e32 v48, v16, v13
	s_delay_alu instid0(VALU_DEP_4) | instskip(NEXT) | instid1(VALU_DEP_4)
	v_dual_mul_f32 v14, 0xbf167918, v21 :: v_dual_mul_f32 v77, 0xbf167918, v22
	v_mul_f32_e32 v17, 0xbf737871, v26
	v_mul_f32_e32 v26, 0x3e9e377a, v26
	;; [unrolled: 1-line block ×3, first 2 shown]
	s_delay_alu instid0(VALU_DEP_4) | instskip(NEXT) | instid1(VALU_DEP_4)
	v_dual_mul_f32 v69, 0x3f4f1bbd, v21 :: v_dual_fmac_f32 v14, 0x3f4f1bbd, v20
	v_fmac_f32_e32 v17, 0x3e9e377a, v68
	s_delay_alu instid0(VALU_DEP_4)
	v_fmac_f32_e32 v26, 0x3f737871, v68
	v_mul_f32_e32 v68, 0xbe9e377a, v6
	v_fmac_f32_e32 v18, 0xbe9e377a, v81
	v_fmac_f32_e32 v77, 0xbf4f1bbd, v11
	v_dual_fmac_f32 v69, 0x3f167918, v20 :: v_dual_add_f32 v16, v15, v14
	v_mul_f32_e32 v78, 0xbf4f1bbd, v22
	v_fmac_f32_e32 v68, 0x3f737871, v81
	v_dual_add_f32 v19, v47, v17 :: v_dual_add_f32 v20, v46, v18
	v_add_f32_e32 v22, v24, v77
	v_sub_f32_e32 v14, v15, v14
	v_sub_f32_e32 v15, v47, v17
	v_dual_sub_f32 v17, v46, v18 :: v_dual_sub_f32 v18, v24, v77
	v_add_f32_e32 v24, v70, v28
	v_dual_add_f32 v13, v9, v8 :: v_dual_fmac_f32 v78, 0x3f167918, v11
	v_sub_f32_e32 v21, v9, v8
	v_add_f32_e32 v6, v45, v48
	v_dual_add_f32 v8, v50, v69 :: v_dual_add_f32 v9, v67, v26
	v_add_f32_e32 v11, v66, v68
	v_dual_sub_f32 v45, v45, v48 :: v_dual_sub_f32 v46, v50, v69
	v_sub_f32_e32 v47, v67, v26
	v_sub_f32_e32 v26, v124, v70
	;; [unrolled: 1-line block ×4, first 2 shown]
	v_add_f32_e32 v66, v124, v72
	v_fma_f32 v67, -0.5, v24, v10
	v_sub_f32_e32 v24, v125, v76
	v_add_f32_e32 v26, v26, v50
	v_add_f32_e32 v50, v10, v124
	v_fmac_f32_e32 v10, -0.5, v66
	s_delay_alu instid0(VALU_DEP_4) | instskip(SKIP_2) | instid1(VALU_DEP_3)
	v_dual_sub_f32 v66, v71, v31 :: v_dual_fmamk_f32 v79, v24, 0xbf737871, v67
	v_fmac_f32_e32 v67, 0x3f737871, v24
	v_sub_f32_e32 v68, v70, v124
	v_dual_sub_f32 v69, v28, v72 :: v_dual_fmamk_f32 v80, v66, 0x3f737871, v10
	s_delay_alu instid0(VALU_DEP_4) | instskip(NEXT) | instid1(VALU_DEP_4)
	v_fmac_f32_e32 v79, 0xbf167918, v66
	v_fmac_f32_e32 v67, 0x3f167918, v66
	v_fmac_f32_e32 v10, 0xbf737871, v66
	s_delay_alu instid0(VALU_DEP_4)
	v_add_f32_e32 v66, v68, v69
	v_fmac_f32_e32 v80, 0xbf167918, v24
	v_fmac_f32_e32 v79, 0x3e9e377a, v26
	;; [unrolled: 1-line block ×3, first 2 shown]
	v_add_f32_e32 v68, v50, v70
	v_fmac_f32_e32 v10, 0x3f167918, v24
	v_add_f32_e32 v26, v71, v31
	v_dual_fmac_f32 v80, 0x3e9e377a, v66 :: v_dual_add_f32 v77, v125, v76
	s_delay_alu instid0(VALU_DEP_4) | instskip(NEXT) | instid1(VALU_DEP_4)
	v_add_f32_e32 v24, v68, v28
	v_fmac_f32_e32 v10, 0x3e9e377a, v66
	v_add_f32_e32 v68, v12, v125
	v_sub_f32_e32 v28, v70, v28
	v_sub_f32_e32 v70, v76, v31
	v_add_f32_e32 v66, v24, v72
	v_sub_f32_e32 v24, v124, v72
	v_fma_f32 v72, -0.5, v26, v12
	v_sub_f32_e32 v26, v125, v71
	v_add_f32_e32 v68, v68, v71
	v_fmac_f32_e32 v12, -0.5, v77
	v_sub_f32_e32 v71, v71, v125
	v_fmamk_f32 v69, v24, 0x3f737871, v72
	v_fmac_f32_e32 v72, 0xbf737871, v24
	v_add_f32_e32 v26, v26, v70
	v_dual_add_f32 v68, v68, v31 :: v_dual_sub_f32 v31, v31, v76
	s_delay_alu instid0(VALU_DEP_4) | instskip(NEXT) | instid1(VALU_DEP_4)
	v_fmac_f32_e32 v69, 0x3f167918, v28
	v_fmac_f32_e32 v72, 0xbf167918, v28
	v_fmamk_f32 v70, v28, 0xbf737871, v12
	v_fmac_f32_e32 v12, 0x3f737871, v28
	s_delay_alu instid0(VALU_DEP_4) | instskip(NEXT) | instid1(VALU_DEP_4)
	v_dual_add_f32 v68, v68, v76 :: v_dual_fmac_f32 v69, 0x3e9e377a, v26
	v_fmac_f32_e32 v72, 0x3e9e377a, v26
	v_dual_add_f32 v26, v71, v31 :: v_dual_add_f32 v31, v25, v73
	v_sub_f32_e32 v28, v75, v25
	v_dual_sub_f32 v71, v23, v73 :: v_dual_fmac_f32 v70, 0x3f167918, v24
	v_fmac_f32_e32 v12, 0xbf167918, v24
	v_add_f32_e32 v24, v75, v23
	v_fma_f32 v31, -0.5, v31, v51
	v_sub_f32_e32 v76, v27, v30
	v_add_f32_e32 v28, v28, v71
	v_add_f32_e32 v71, v51, v75
	v_dual_fmac_f32 v51, -0.5, v24 :: v_dual_sub_f32 v24, v74, v29
	s_delay_alu instid0(VALU_DEP_4)
	v_fmamk_f32 v77, v76, 0xbf737871, v31
	v_dual_fmac_f32 v31, 0x3f737871, v76 :: v_dual_add_f32 v50, v49, v78
	v_sub_f32_e32 v49, v49, v78
	v_sub_f32_e32 v78, v25, v75
	;; [unrolled: 1-line block ×3, first 2 shown]
	v_fmamk_f32 v97, v24, 0x3f737871, v51
	v_fmac_f32_e32 v51, 0xbf737871, v24
	v_fmac_f32_e32 v77, 0xbf167918, v24
	s_delay_alu instid0(VALU_DEP_4) | instskip(NEXT) | instid1(VALU_DEP_4)
	v_dual_fmac_f32 v31, 0x3f167918, v24 :: v_dual_add_f32 v24, v78, v81
	v_fmac_f32_e32 v97, 0xbf167918, v76
	s_delay_alu instid0(VALU_DEP_4)
	v_fmac_f32_e32 v51, 0x3f167918, v76
	v_fmac_f32_e32 v70, 0x3e9e377a, v26
	v_dual_fmac_f32 v12, 0x3e9e377a, v26 :: v_dual_fmac_f32 v77, 0x3e9e377a, v28
	v_dual_fmac_f32 v31, 0x3e9e377a, v28 :: v_dual_add_f32 v26, v74, v29
	v_dual_add_f32 v28, v27, v30 :: v_dual_fmac_f32 v97, 0x3e9e377a, v24
	v_dual_fmac_f32 v51, 0x3e9e377a, v24 :: v_dual_sub_f32 v24, v25, v73
	s_delay_alu instid0(VALU_DEP_3) | instskip(SKIP_1) | instid1(VALU_DEP_4)
	v_fma_f32 v78, -0.5, v26, v52
	v_add_f32_e32 v26, v52, v27
	v_dual_fmac_f32 v52, -0.5, v28 :: v_dual_add_f32 v25, v71, v25
	v_sub_f32_e32 v28, v75, v23
	v_dual_sub_f32 v71, v27, v74 :: v_dual_sub_f32 v76, v30, v29
	v_sub_f32_e32 v27, v74, v27
	s_delay_alu instid0(VALU_DEP_4) | instskip(NEXT) | instid1(VALU_DEP_4)
	v_add_f32_e32 v25, v25, v73
	v_fmamk_f32 v73, v28, 0x3f737871, v78
	v_fmamk_f32 v81, v24, 0xbf737871, v52
	v_sub_f32_e32 v75, v29, v30
	v_dual_add_f32 v71, v71, v76 :: v_dual_add_f32 v26, v26, v74
	s_delay_alu instid0(VALU_DEP_4) | instskip(NEXT) | instid1(VALU_DEP_3)
	v_fmac_f32_e32 v73, 0x3f167918, v24
	v_dual_fmac_f32 v52, 0x3f737871, v24 :: v_dual_add_f32 v27, v27, v75
	v_fmac_f32_e32 v78, 0xbf737871, v28
	s_delay_alu instid0(VALU_DEP_4) | instskip(NEXT) | instid1(VALU_DEP_4)
	v_dual_add_f32 v98, v25, v23 :: v_dual_add_f32 v23, v26, v29
	v_fmac_f32_e32 v73, 0x3e9e377a, v71
	v_fmac_f32_e32 v81, 0x3f167918, v28
	;; [unrolled: 1-line block ×4, first 2 shown]
	v_add_f32_e32 v76, v23, v30
	v_mul_f32_e32 v30, 0xbf167918, v73
	v_fmac_f32_e32 v81, 0x3e9e377a, v27
	v_mul_f32_e32 v75, 0x3f4f1bbd, v73
	v_fmac_f32_e32 v52, 0x3e9e377a, v27
	v_fmac_f32_e32 v78, 0x3e9e377a, v71
	;; [unrolled: 1-line block ×3, first 2 shown]
	v_mul_f32_e32 v99, 0xbf737871, v81
	v_fmac_f32_e32 v75, 0x3f167918, v77
	v_mul_f32_e32 v77, 0x3e9e377a, v81
	v_mul_f32_e32 v26, 0xbf737871, v52
	;; [unrolled: 1-line block ×5, first 2 shown]
	v_fmac_f32_e32 v77, 0x3f737871, v97
	v_fmac_f32_e32 v26, 0xbe9e377a, v51
	;; [unrolled: 1-line block ×4, first 2 shown]
	s_delay_alu instid0(VALU_DEP_4)
	v_dual_add_f32 v51, v69, v75 :: v_dual_add_f32 v52, v70, v77
	v_add_f32_e32 v78, v60, v63
	v_dual_sub_f32 v69, v69, v75 :: v_dual_sub_f32 v70, v70, v77
	v_sub_f32_e32 v75, v58, v60
	v_sub_f32_e32 v77, v65, v63
	v_dual_fmac_f32 v99, 0x3e9e377a, v97 :: v_dual_add_f32 v28, v67, v71
	v_fmac_f32_e32 v73, 0x3f167918, v31
	v_sub_f32_e32 v71, v67, v71
	v_sub_f32_e32 v67, v68, v76
	v_add_f32_e32 v75, v75, v77
	v_add_f32_e32 v25, v10, v26
	v_dual_sub_f32 v23, v10, v26 :: v_dual_add_f32 v10, v68, v76
	v_fma_f32 v76, -0.5, v78, v5
	v_sub_f32_e32 v78, v59, v64
	v_dual_add_f32 v26, v79, v30 :: v_dual_add_f32 v27, v80, v99
	v_dual_sub_f32 v30, v79, v30 :: v_dual_sub_f32 v31, v80, v99
	s_delay_alu instid0(VALU_DEP_3)
	v_dual_add_f32 v68, v72, v73 :: v_dual_fmamk_f32 v79, v78, 0xbf737871, v76
	v_sub_f32_e32 v80, v61, v62
	v_fmac_f32_e32 v76, 0x3f737871, v78
	v_dual_sub_f32 v72, v72, v73 :: v_dual_add_f32 v73, v5, v58
	v_add_f32_e32 v24, v66, v98
	v_sub_f32_e32 v29, v66, v98
	v_add_f32_e32 v66, v12, v74
	v_sub_f32_e32 v12, v12, v74
	v_dual_add_f32 v74, v58, v65 :: v_dual_fmac_f32 v79, 0xbf167918, v80
	v_dual_fmac_f32 v76, 0x3f167918, v80 :: v_dual_sub_f32 v77, v63, v65
	v_add_f32_e32 v73, v73, v60
	s_delay_alu instid0(VALU_DEP_3) | instskip(NEXT) | instid1(VALU_DEP_4)
	v_fmac_f32_e32 v5, -0.5, v74
	v_dual_fmac_f32 v79, 0x3e9e377a, v75 :: v_dual_sub_f32 v74, v60, v58
	s_delay_alu instid0(VALU_DEP_4) | instskip(NEXT) | instid1(VALU_DEP_3)
	v_fmac_f32_e32 v76, 0x3e9e377a, v75
	v_dual_sub_f32 v58, v58, v65 :: v_dual_fmamk_f32 v75, v80, 0x3f737871, v5
	v_dual_fmac_f32 v5, 0xbf737871, v80 :: v_dual_add_f32 v80, v7, v59
	s_delay_alu instid0(VALU_DEP_4) | instskip(NEXT) | instid1(VALU_DEP_3)
	v_add_f32_e32 v74, v74, v77
	v_dual_sub_f32 v60, v60, v63 :: v_dual_fmac_f32 v75, 0xbf167918, v78
	s_delay_alu instid0(VALU_DEP_3) | instskip(NEXT) | instid1(VALU_DEP_4)
	v_fmac_f32_e32 v5, 0x3f167918, v78
	v_dual_add_f32 v77, v80, v61 :: v_dual_add_f32 v80, v73, v63
	s_barrier_wait -1
	s_delay_alu instid0(VALU_DEP_3) | instskip(SKIP_4) | instid1(VALU_DEP_4)
	v_fmac_f32_e32 v75, 0x3e9e377a, v74
	v_add_f32_e32 v78, v61, v62
	v_fmac_f32_e32 v5, 0x3e9e377a, v74
	v_dual_add_f32 v74, v77, v62 :: v_dual_add_f32 v77, v59, v64
	v_add_f32_e32 v65, v80, v65
	v_fma_f32 v73, -0.5, v78, v7
	v_add_f32_e32 v80, v35, v36
	global_inv scope:SCOPE_SE
	v_fmac_f32_e32 v7, -0.5, v77
	v_sub_f32_e32 v77, v59, v61
	v_fmamk_f32 v63, v58, 0x3f737871, v73
	v_sub_f32_e32 v59, v61, v59
	v_sub_f32_e32 v61, v64, v62
	v_fmac_f32_e32 v73, 0xbf737871, v58
	v_fmamk_f32 v78, v60, 0xbf737871, v7
	v_sub_f32_e32 v62, v62, v64
	v_fmac_f32_e32 v63, 0x3f167918, v60
	v_add_f32_e32 v61, v77, v61
	v_fmac_f32_e32 v73, 0xbf167918, v60
	v_fmac_f32_e32 v7, 0x3f737871, v60
	v_add_f32_e32 v60, v55, v56
	v_fmac_f32_e32 v78, 0x3f167918, v58
	v_add_f32_e32 v59, v59, v62
	v_fmac_f32_e32 v63, 0x3e9e377a, v61
	v_dual_fmac_f32 v73, 0x3e9e377a, v61 :: v_dual_add_f32 v74, v74, v64
	v_fmac_f32_e32 v7, 0xbf167918, v58
	v_fma_f32 v58, -0.5, v60, v35
	v_dual_sub_f32 v60, v34, v54 :: v_dual_sub_f32 v61, v36, v55
	v_sub_f32_e32 v62, v57, v56
	v_add_f32_e32 v64, v36, v57
	v_fmac_f32_e32 v78, 0x3e9e377a, v59
	v_fmac_f32_e32 v7, 0x3e9e377a, v59
	v_fmamk_f32 v59, v60, 0xbf737871, v58
	v_sub_f32_e32 v77, v53, v32
	v_add_f32_e32 v61, v61, v62
	v_fmac_f32_e32 v35, -0.5, v64
	v_fmac_f32_e32 v58, 0x3f737871, v60
	s_delay_alu instid0(VALU_DEP_4) | instskip(SKIP_1) | instid1(VALU_DEP_4)
	v_dual_add_f32 v62, v80, v55 :: v_dual_fmac_f32 v59, 0xbf167918, v77
	v_sub_f32_e32 v64, v55, v36
	v_dual_sub_f32 v80, v56, v57 :: v_dual_fmamk_f32 v81, v77, 0x3f737871, v35
	s_delay_alu instid0(VALU_DEP_3) | instskip(SKIP_1) | instid1(VALU_DEP_3)
	v_dual_fmac_f32 v35, 0xbf737871, v77 :: v_dual_add_f32 v62, v62, v56
	v_fmac_f32_e32 v58, 0x3f167918, v77
	v_add_f32_e32 v64, v64, v80
	s_delay_alu instid0(VALU_DEP_4) | instskip(NEXT) | instid1(VALU_DEP_4)
	v_fmac_f32_e32 v81, 0xbf167918, v60
	v_dual_fmac_f32 v35, 0x3f167918, v60 :: v_dual_add_f32 v60, v62, v57
	v_fmac_f32_e32 v59, 0x3e9e377a, v61
	v_dual_fmac_f32 v58, 0x3e9e377a, v61 :: v_dual_add_f32 v61, v53, v32
	s_delay_alu instid0(VALU_DEP_4) | instskip(NEXT) | instid1(VALU_DEP_4)
	v_dual_add_f32 v62, v34, v54 :: v_dual_fmac_f32 v81, 0x3e9e377a, v64
	v_dual_fmac_f32 v35, 0x3e9e377a, v64 :: v_dual_add_f32 v64, v33, v34
	s_delay_alu instid0(VALU_DEP_3) | instskip(SKIP_1) | instid1(VALU_DEP_4)
	v_fma_f32 v61, -0.5, v61, v33
	v_sub_f32_e32 v55, v55, v56
	v_dual_fmac_f32 v33, -0.5, v62 :: v_dual_sub_f32 v36, v36, v57
	v_sub_f32_e32 v56, v34, v53
	v_sub_f32_e32 v34, v53, v34
	s_delay_alu instid0(VALU_DEP_3) | instskip(SKIP_2) | instid1(VALU_DEP_3)
	v_dual_sub_f32 v57, v32, v54 :: v_dual_fmamk_f32 v62, v55, 0xbf737871, v33
	v_fmac_f32_e32 v33, 0x3f737871, v55
	v_dual_sub_f32 v77, v54, v32 :: v_dual_fmamk_f32 v80, v36, 0x3f737871, v61
	v_dual_add_f32 v34, v34, v57 :: v_dual_fmac_f32 v61, 0xbf737871, v36
	s_delay_alu instid0(VALU_DEP_2) | instskip(NEXT) | instid1(VALU_DEP_3)
	v_dual_fmac_f32 v33, 0xbf167918, v36 :: v_dual_add_f32 v56, v56, v77
	v_dual_fmac_f32 v80, 0x3f167918, v55 :: v_dual_add_f32 v53, v64, v53
	v_fmac_f32_e32 v62, 0x3f167918, v36
	s_delay_alu instid0(VALU_DEP_3) | instskip(SKIP_1) | instid1(VALU_DEP_4)
	v_fmac_f32_e32 v33, 0x3e9e377a, v34
	v_fmac_f32_e32 v61, 0xbf167918, v55
	;; [unrolled: 1-line block ×3, first 2 shown]
	v_add_f32_e32 v32, v53, v32
	v_fmac_f32_e32 v62, 0x3e9e377a, v34
	v_mul_f32_e32 v36, 0xbf737871, v33
	v_mul_f32_e32 v33, 0xbe9e377a, v33
	;; [unrolled: 1-line block ×4, first 2 shown]
	v_dual_fmac_f32 v61, 0x3e9e377a, v56 :: v_dual_add_f32 v64, v32, v54
	s_delay_alu instid0(VALU_DEP_4) | instskip(NEXT) | instid1(VALU_DEP_4)
	v_fmac_f32_e32 v33, 0x3f737871, v35
	v_fmac_f32_e32 v57, 0x3f4f1bbd, v59
	s_delay_alu instid0(VALU_DEP_4) | instskip(NEXT) | instid1(VALU_DEP_4)
	v_fmac_f32_e32 v80, 0x3f167918, v59
	v_mul_f32_e32 v97, 0xbf167918, v61
	v_mul_f32_e32 v61, 0xbf4f1bbd, v61
	v_dual_add_f32 v56, v7, v33 :: v_dual_mul_f32 v77, 0xbf737871, v62
	s_delay_alu instid0(VALU_DEP_4)
	v_add_f32_e32 v54, v63, v80
	v_sub_f32_e32 v59, v63, v80
	v_sub_f32_e32 v63, v7, v33
	v_mul_u32_u24_e32 v7, 0x4b0, v42
	v_dual_fmac_f32 v36, 0xbe9e377a, v35 :: v_dual_lshlrev_b32 v33, 2, v38
	v_fmac_f32_e32 v61, 0x3f167918, v58
	v_fmac_f32_e32 v77, 0x3e9e377a, v81
	;; [unrolled: 1-line block ×3, first 2 shown]
	s_delay_alu instid0(VALU_DEP_4)
	v_add3_u32 v7, 0, v7, v33
	v_mul_u32_u24_e32 v33, 0x4b0, v37
	v_lshlrev_b32_e32 v37, 2, v40
	ds_store_2addr_b32 v7, v13, v16 offset1:30
	ds_store_2addr_b32 v7, v19, v20 offset0:60 offset1:90
	ds_store_2addr_b32 v7, v22, v21 offset0:120 offset1:150
	v_mul_u32_u24_e32 v13, 0x4b0, v39
	v_lshlrev_b32_e32 v16, 2, v41
	v_add_f32_e32 v32, v65, v60
	v_add_f32_e32 v34, v5, v36
	v_dual_sub_f32 v5, v5, v36 :: v_dual_add_f32 v36, v79, v57
	v_dual_sub_f32 v35, v65, v60 :: v_dual_sub_f32 v60, v79, v57
	v_add_f32_e32 v57, v73, v61
	v_sub_f32_e32 v61, v73, v61
	v_add3_u32 v73, 0, v33, v37
	v_add_f32_e32 v98, v75, v77
	v_add_f32_e32 v99, v76, v97
	v_sub_f32_e32 v65, v75, v77
	v_sub_f32_e32 v75, v76, v97
	v_add3_u32 v76, 0, v13, v16
	v_add_f32_e32 v53, v74, v64
	v_sub_f32_e32 v58, v74, v64
	v_add_nc_u32_e32 v64, 0x200, v7
	v_add_nc_u32_e32 v74, 0x200, v73
	ds_store_2addr_b32 v7, v14, v15 offset0:180 offset1:210
	ds_store_2addr_b32 v64, v17, v18 offset0:112 offset1:142
	ds_store_2addr_b32 v73, v24, v26 offset1:30
	ds_store_2addr_b32 v73, v27, v25 offset0:60 offset1:90
	ds_store_2addr_b32 v73, v28, v29 offset0:120 offset1:150
	;; [unrolled: 1-line block ×4, first 2 shown]
	v_add_nc_u32_e32 v71, 0x200, v76
	ds_store_2addr_b32 v76, v32, v36 offset1:30
	ds_store_2addr_b32 v76, v98, v34 offset0:60 offset1:90
	ds_store_2addr_b32 v76, v99, v35 offset0:120 offset1:150
	;; [unrolled: 1-line block ×4, first 2 shown]
	global_wb scope:SCOPE_SE
	s_wait_dscnt 0x0
	s_barrier_signal -1
	s_barrier_wait -1
	global_inv scope:SCOPE_SE
	ds_load_2addr_b32 v[21:22], v0 offset1:90
	ds_load_2addr_b32 v[41:42], v95 offset0:132 offset1:222
	ds_load_2addr_b32 v[39:40], v93 offset0:8 offset1:98
	;; [unrolled: 1-line block ×14, first 2 shown]
	global_wb scope:SCOPE_SE
	s_wait_dscnt 0x0
	s_barrier_signal -1
	s_barrier_wait -1
	global_inv scope:SCOPE_SE
	ds_store_2addr_b32 v7, v6, v8 offset1:30
	ds_store_2addr_b32 v7, v9, v11 offset0:60 offset1:90
	ds_store_2addr_b32 v7, v50, v45 offset0:120 offset1:150
	;; [unrolled: 1-line block ×4, first 2 shown]
	ds_store_2addr_b32 v73, v10, v51 offset1:30
	ds_store_2addr_b32 v73, v52, v66 offset0:60 offset1:90
	ds_store_2addr_b32 v73, v68, v67 offset0:120 offset1:150
	;; [unrolled: 1-line block ×4, first 2 shown]
	v_dual_mov_b32 v6, 0 :: v_dual_lshlrev_b32 v5, 1, v82
	v_dual_mul_f32 v62, 0x3e9e377a, v62 :: v_dual_lshlrev_b32 v9, 1, v44
	v_add_nc_u32_e32 v51, 0x10e, v82
	v_subrev_nc_u32_e32 v11, 30, v82
	s_delay_alu instid0(VALU_DEP_4) | instskip(NEXT) | instid1(VALU_DEP_4)
	v_lshlrev_b64_e32 v[7:8], 3, v[5:6]
	v_fmac_f32_e32 v62, 0x3f737871, v81
	v_mov_b32_e32 v10, v6
	v_dual_mov_b32 v44, v6 :: v_dual_mov_b32 v65, v6
	s_delay_alu instid0(VALU_DEP_4)
	v_add_co_u32 v7, s0, s8, v7
	s_wait_alu 0xf1ff
	v_add_co_ci_u32_e64 v8, s0, s9, v8, s0
	v_cmp_gt_u32_e64 s0, 30, v82
	v_add_f32_e32 v55, v78, v62
	v_lshlrev_b64_e32 v[9:10], 3, v[9:10]
	v_sub_f32_e32 v62, v78, v62
	ds_store_2addr_b32 v76, v53, v54 offset1:30
	ds_store_2addr_b32 v76, v55, v56 offset0:60 offset1:90
	ds_store_2addr_b32 v76, v57, v58 offset0:120 offset1:150
	;; [unrolled: 1-line block ×3, first 2 shown]
	s_wait_alu 0xf1ff
	v_cndmask_b32_e64 v56, v11, v51, s0
	v_lshlrev_b64_e32 v[52:53], 3, v[43:44]
	v_add_co_u32 v11, s0, s8, v9
	s_wait_alu 0xf1ff
	v_add_co_ci_u32_e64 v12, s0, s9, v10, s0
	v_dual_mov_b32 v10, v6 :: v_dual_lshlrev_b32 v9, 1, v56
	ds_store_2addr_b32 v71, v63, v61 offset0:112 offset1:142
	global_wb scope:SCOPE_SE
	s_wait_dscnt 0x0
	s_barrier_signal -1
	s_barrier_wait -1
	global_inv scope:SCOPE_SE
	s_clause 0x1
	global_load_b128 v[43:46], v[7:8], off offset:2376
	global_load_b128 v[47:50], v[11:12], off offset:2376
	v_lshlrev_b64_e32 v[54:55], 3, v[9:10]
	v_add_co_u32 v9, s0, s8, v52
	v_add_nc_u32_e32 v52, 0x21c, v82
	s_wait_alu 0xf1ff
	v_add_co_ci_u32_e64 v10, s0, s9, v53, s0
	s_delay_alu instid0(VALU_DEP_4)
	v_add_co_u32 v54, s0, s8, v54
	v_dual_mov_b32 v58, v6 :: v_dual_add_nc_u32 v57, 0x78, v5
	v_lshrrev_b16 v64, 2, v52
	s_wait_alu 0xf1ff
	v_add_co_ci_u32_e64 v55, s0, s9, v55, s0
	v_add_nc_u32_e32 v53, 0x276, v82
	v_lshlrev_b64_e32 v[62:63], 3, v[57:58]
	s_clause 0x1
	global_load_b128 v[58:61], v[9:10], off offset:2376
	global_load_b128 v[67:70], v[54:55], off offset:2376
	v_and_b32_e32 v54, 0xffff, v64
	v_add_nc_u32_e32 v64, 0x12c, v5
	v_lshrrev_b16 v55, 2, v53
	v_add_co_u32 v62, s0, s8, v62
	s_delay_alu instid0(VALU_DEP_4)
	v_mul_u32_u24_e32 v57, 0x6d3b, v54
	s_wait_alu 0xf1ff
	v_add_co_ci_u32_e64 v63, s0, s9, v63, s0
	v_and_b32_e32 v55, 0xffff, v55
	v_add_nc_u32_e32 v54, 0x2d0, v82
	v_lshrrev_b32_e32 v57, 21, v57
	global_load_b128 v[103:106], v[62:63], off offset:2376
	v_lshlrev_b64_e32 v[62:63], 3, v[64:65]
	v_mul_u32_u24_e32 v55, 0x6d3b, v55
	v_lshrrev_b16 v66, 2, v54
	v_mul_lo_u16 v64, 0x12c, v57
	s_delay_alu instid0(VALU_DEP_3) | instskip(SKIP_1) | instid1(VALU_DEP_3)
	v_lshrrev_b32_e32 v65, 21, v55
	v_add_nc_u32_e32 v55, 0x32a, v82
	v_sub_nc_u16 v64, v52, v64
	v_add_co_u32 v62, s0, s8, v62
	s_delay_alu instid0(VALU_DEP_4)
	v_mul_lo_u16 v65, 0x12c, v65
	s_wait_alu 0xf1ff
	v_add_co_ci_u32_e64 v63, s0, s9, v63, s0
	v_and_b32_e32 v128, 0xffff, v64
	v_lshrrev_b16 v71, 2, v55
	v_sub_nc_u16 v64, v53, v65
	v_and_b32_e32 v66, 0xffff, v66
	global_load_b128 v[108:111], v[62:63], off offset:2376
	v_lshlrev_b32_e32 v65, 4, v128
	v_and_b32_e32 v62, 0xffff, v71
	v_and_b32_e32 v129, 0xffff, v64
	v_mul_u32_u24_e32 v66, 0x6d3b, v66
	v_cmp_lt_u32_e64 s0, 29, v82
	global_load_b128 v[112:115], v65, s[8:9] offset:2376
	v_mul_u32_u24_e32 v62, 0x6d3b, v62
	v_lshlrev_b32_e32 v64, 4, v129
	v_lshrrev_b32_e32 v63, 21, v66
	s_delay_alu instid0(VALU_DEP_3) | instskip(SKIP_3) | instid1(VALU_DEP_2)
	v_lshrrev_b32_e32 v62, 21, v62
	global_load_b128 v[116:119], v64, s[8:9] offset:2376
	v_mul_lo_u16 v63, 0x12c, v63
	v_mul_lo_u16 v62, 0x12c, v62
	v_sub_nc_u16 v63, v54, v63
	s_delay_alu instid0(VALU_DEP_2) | instskip(NEXT) | instid1(VALU_DEP_2)
	v_sub_nc_u16 v62, v55, v62
	v_and_b32_e32 v130, 0xffff, v63
	s_delay_alu instid0(VALU_DEP_2) | instskip(NEXT) | instid1(VALU_DEP_2)
	v_and_b32_e32 v107, 0xffff, v62
	v_lshlrev_b32_e32 v63, 4, v130
	s_delay_alu instid0(VALU_DEP_2)
	v_lshlrev_b32_e32 v62, 4, v107
	v_lshl_add_u32 v107, v107, 2, 0
	s_clause 0x1
	global_load_b128 v[120:123], v63, s[8:9] offset:2376
	global_load_b128 v[124:127], v62, s[8:9] offset:2376
	ds_load_2addr_b32 v[63:64], v95 offset0:132 offset1:222
	ds_load_2addr_b32 v[65:66], v93 offset0:8 offset1:98
	;; [unrolled: 1-line block ×4, first 2 shown]
	s_wait_loadcnt_dscnt 0x903
	v_mul_f32_e32 v131, v63, v44
	v_mul_f32_e32 v44, v41, v44
	s_wait_loadcnt_dscnt 0x802
	v_dual_mul_f32 v133, v64, v48 :: v_dual_mul_f32 v132, v65, v46
	s_delay_alu instid0(VALU_DEP_3) | instskip(SKIP_4) | instid1(VALU_DEP_4)
	v_fmac_f32_e32 v131, v41, v43
	v_mul_f32_e32 v41, v39, v46
	v_fma_f32 v76, v63, v43, -v44
	v_mul_f32_e32 v43, v42, v48
	v_fmac_f32_e32 v133, v42, v47
	v_fma_f32 v63, v65, v45, -v41
	ds_load_2addr_b32 v[41:42], v86 offset0:108 offset1:198
	v_fma_f32 v135, v64, v47, -v43
	v_mul_f32_e32 v43, v40, v50
	s_wait_loadcnt_dscnt 0x702
	v_mul_f32_e32 v71, v72, v59
	s_wait_dscnt 0x1
	v_dual_mul_f32 v44, v37, v59 :: v_dual_mul_f32 v77, v74, v61
	v_fma_f32 v80, v66, v49, -v43
	s_wait_loadcnt 0x6
	v_mul_f32_e32 v43, v36, v70
	v_fmac_f32_e32 v71, v37, v58
	v_mul_f32_e32 v37, v35, v61
	v_fma_f32 v102, v72, v58, -v44
	v_fmac_f32_e32 v77, v35, v60
	v_dual_mul_f32 v35, v38, v68 :: v_dual_mul_f32 v72, v75, v70
	s_delay_alu instid0(VALU_DEP_4) | instskip(SKIP_1) | instid1(VALU_DEP_3)
	v_fma_f32 v81, v74, v60, -v37
	v_fma_f32 v99, v75, v69, -v43
	;; [unrolled: 1-line block ×3, first 2 shown]
	s_delay_alu instid0(VALU_DEP_4) | instskip(SKIP_4) | instid1(VALU_DEP_2)
	v_fmac_f32_e32 v72, v36, v69
	ds_load_2addr_b32 v[35:36], v94 offset0:160 offset1:250
	s_wait_loadcnt_dscnt 0x501
	v_dual_mul_f32 v59, v41, v104 :: v_dual_fmac_f32 v132, v39, v45
	v_dual_mul_f32 v43, v31, v106 :: v_dual_mul_f32 v44, v33, v104
	v_dual_fmac_f32 v59, v33, v103 :: v_dual_mul_f32 v134, v66, v50
	v_mul_f32_e32 v66, v73, v68
	s_delay_alu instid0(VALU_DEP_3) | instskip(NEXT) | instid1(VALU_DEP_3)
	v_fma_f32 v73, v41, v103, -v44
	v_fmac_f32_e32 v134, v40, v49
	ds_load_2addr_b32 v[39:40], v87 offset0:112 offset1:202
	s_wait_loadcnt 0x4
	v_mul_f32_e32 v60, v42, v109
	s_wait_loadcnt_dscnt 0x301
	v_mul_f32_e32 v68, v35, v113
	s_delay_alu instid0(VALU_DEP_1)
	v_fmac_f32_e32 v68, v29, v112
	v_fmac_f32_e32 v66, v38, v67
	ds_load_2addr_b32 v[37:38], v91 offset0:36 offset1:126
	s_wait_loadcnt_dscnt 0x201
	v_dual_mul_f32 v65, v36, v117 :: v_dual_mul_f32 v64, v39, v106
	v_mul_f32_e32 v67, v40, v111
	v_fma_f32 v61, v39, v105, -v43
	v_mul_f32_e32 v39, v32, v111
	s_delay_alu instid0(VALU_DEP_4) | instskip(SKIP_2) | instid1(VALU_DEP_4)
	v_dual_fmac_f32 v64, v31, v105 :: v_dual_add_nc_u32 v111, 0xe00, v0
	v_mul_f32_e32 v31, v34, v109
	v_fmac_f32_e32 v67, v32, v110
	v_fma_f32 v103, v40, v110, -v39
	ds_load_2addr_b32 v[109:110], v0 offset1:90
	v_mul_f32_e32 v39, v29, v113
	v_fma_f32 v100, v42, v108, -v31
	ds_load_2addr_b32 v[31:32], v96 offset0:88 offset1:178
	v_mul_f32_e32 v29, v28, v119
	v_fmac_f32_e32 v65, v30, v116
	v_fma_f32 v97, v35, v112, -v39
	s_wait_dscnt 0x2
	v_mul_f32_e32 v74, v37, v115
	v_mul_f32_e32 v75, v38, v119
	v_fma_f32 v78, v38, v118, -v29
	s_delay_alu instid0(VALU_DEP_3)
	v_fmac_f32_e32 v74, v27, v114
	v_fmac_f32_e32 v60, v34, v108
	ds_load_2addr_b32 v[33:34], v90 offset0:84 offset1:174
	ds_load_2addr_b32 v[49:50], v83 offset0:52 offset1:142
	;; [unrolled: 1-line block ×5, first 2 shown]
	v_dual_fmac_f32 v75, v28, v118 :: v_dual_add_f32 v28, v17, v71
	global_wb scope:SCOPE_SE
	s_wait_loadcnt_dscnt 0x0
	s_barrier_signal -1
	s_barrier_wait -1
	global_inv scope:SCOPE_SE
	v_mul_f32_e32 v105, v32, v127
	s_delay_alu instid0(VALU_DEP_1) | instskip(SKIP_1) | instid1(VALU_DEP_2)
	v_dual_mul_f32 v62, v31, v123 :: v_dual_fmac_f32 v105, v24, v126
	v_mul_f32_e32 v24, v24, v127
	v_fmac_f32_e32 v62, v23, v122
	v_dual_mul_f32 v40, v27, v115 :: v_dual_mul_f32 v27, v30, v117
	v_lshl_add_u32 v115, v129, 2, 0
	s_delay_alu instid0(VALU_DEP_4)
	v_fma_f32 v108, v32, v126, -v24
	v_mul_f32_e32 v58, v33, v121
	v_mul_f32_e32 v79, v34, v125
	v_fma_f32 v101, v36, v116, -v27
	v_mul_f32_e32 v27, v25, v121
	v_fma_f32 v70, v37, v114, -v40
	v_dual_fmac_f32 v58, v25, v120 :: v_dual_mul_f32 v25, v23, v123
	v_mul_f32_e32 v23, v26, v125
	s_delay_alu instid0(VALU_DEP_4) | instskip(SKIP_1) | instid1(VALU_DEP_4)
	v_fma_f32 v69, v33, v120, -v27
	v_dual_fmac_f32 v79, v26, v124 :: v_dual_sub_f32 v26, v76, v63
	v_fma_f32 v104, v31, v122, -v25
	v_add_f32_e32 v25, v131, v132
	v_fma_f32 v106, v34, v124, -v23
	v_add_f32_e32 v23, v133, v134
	v_add_f32_e32 v27, v22, v133
	;; [unrolled: 1-line block ×3, first 2 shown]
	v_fma_f32 v25, -0.5, v25, v21
	v_add_f32_e32 v21, v21, v131
	v_dual_fmac_f32 v22, -0.5, v23 :: v_dual_sub_f32 v23, v135, v80
	s_delay_alu instid0(VALU_DEP_3) | instskip(SKIP_1) | instid1(VALU_DEP_3)
	v_fmamk_f32 v24, v26, 0xbf5db3d7, v25
	v_fmac_f32_e32 v25, 0x3f5db3d7, v26
	v_dual_add_f32 v21, v21, v132 :: v_dual_fmamk_f32 v26, v23, 0xbf5db3d7, v22
	v_dual_fmac_f32 v22, 0x3f5db3d7, v23 :: v_dual_add_f32 v23, v71, v77
	v_sub_f32_e32 v71, v71, v77
	v_dual_add_f32 v28, v28, v77 :: v_dual_add_f32 v77, v98, v99
	ds_store_2addr_b32 v88, v25, v22 offset0:88 offset1:178
	v_fma_f32 v17, -0.5, v23, v17
	v_sub_f32_e32 v23, v102, v81
	v_add_f32_e32 v22, v66, v72
	s_wait_alu 0xf1ff
	v_cndmask_b32_e64 v25, 0, 0xe10, s0
	s_delay_alu instid0(VALU_DEP_3) | instskip(SKIP_2) | instid1(VALU_DEP_1)
	v_fmamk_f32 v29, v23, 0xbf5db3d7, v17
	v_fmac_f32_e32 v17, 0x3f5db3d7, v23
	v_add_f32_e32 v23, v59, v64
	v_fma_f32 v23, -0.5, v23, v19
	v_add_f32_e32 v19, v19, v59
	s_delay_alu instid0(VALU_DEP_1)
	v_add_f32_e32 v19, v19, v64
	v_add_f32_e32 v27, v27, v134
	ds_store_2addr_b32 v0, v21, v27 offset1:90
	ds_store_2addr_b32 v83, v28, v24 offset0:52 offset1:172
	ds_store_2addr_b32 v92, v26, v29 offset0:134 offset1:224
	v_add_f32_e32 v21, v18, v66
	v_fmac_f32_e32 v18, -0.5, v22
	v_sub_f32_e32 v22, v98, v99
	v_lshlrev_b32_e32 v24, 2, v56
	ds_store_b32 v0, v17 offset:3120
	v_add_f32_e32 v17, v20, v60
	v_dual_add_f32 v21, v21, v72 :: v_dual_fmamk_f32 v26, v22, 0xbf5db3d7, v18
	v_fmac_f32_e32 v18, 0x3f5db3d7, v22
	v_add_f32_e32 v22, v60, v67
	v_add3_u32 v56, 0, v25, v24
	v_sub_f32_e32 v24, v73, v61
	v_add_f32_e32 v17, v17, v67
	v_lshl_add_u32 v117, v130, 2, 0
	v_fmac_f32_e32 v20, -0.5, v22
	v_sub_f32_e32 v22, v100, v103
	v_fmamk_f32 v25, v24, 0xbf5db3d7, v23
	v_fmac_f32_e32 v23, 0x3f5db3d7, v24
	ds_store_b32 v56, v21
	v_dual_add_f32 v21, v76, v63 :: v_dual_fmamk_f32 v24, v22, 0xbf5db3d7, v20
	v_fmac_f32_e32 v20, 0x3f5db3d7, v22
	ds_store_b32 v56, v18 offset:2400
	ds_store_b32 v56, v26 offset:1200
	ds_store_2addr_b32 v90, v23, v20 offset0:24 offset1:114
	ds_store_2addr_b32 v111, v19, v17 offset0:64 offset1:154
	v_dual_add_f32 v17, v68, v74 :: v_dual_sub_f32 v22, v131, v132
	v_fma_f32 v112, -0.5, v21, v109
	ds_store_2addr_b32 v86, v25, v24 offset0:108 offset1:198
	v_add_f32_e32 v20, v65, v75
	v_fma_f32 v17, -0.5, v17, v15
	v_mul_u32_u24_e32 v23, 0xe10, v57
	v_lshlrev_b32_e32 v24, 2, v128
	v_add_f32_e32 v15, v15, v68
	v_sub_f32_e32 v19, v97, v70
	v_fmamk_f32 v113, v22, 0x3f5db3d7, v112
	v_fmac_f32_e32 v112, 0xbf5db3d7, v22
	v_add_f32_e32 v22, v16, v65
	v_fmac_f32_e32 v16, -0.5, v20
	v_sub_f32_e32 v20, v101, v78
	v_add3_u32 v57, 0, v23, v24
	v_add_f32_e32 v15, v15, v74
	v_fmamk_f32 v21, v19, 0xbf5db3d7, v17
	v_dual_fmac_f32 v17, 0x3f5db3d7, v19 :: v_dual_add_f32 v18, v135, v80
	v_fmamk_f32 v19, v20, 0xbf5db3d7, v16
	v_fmac_f32_e32 v16, 0x3f5db3d7, v20
	v_add_f32_e32 v20, v22, v75
	v_add_f32_e32 v22, v13, v58
	ds_store_b32 v57, v15
	ds_store_b32 v57, v21 offset:1200
	ds_store_b32 v57, v17 offset:2400
	v_dual_add_f32 v17, v79, v105 :: v_dual_add_f32 v76, v109, v76
	v_add_f32_e32 v109, v102, v81
	v_add_f32_e32 v23, v58, v62
	v_fmac_f32_e32 v110, -0.5, v18
	v_sub_f32_e32 v18, v133, v134
	v_add_f32_e32 v15, v22, v62
	v_sub_f32_e32 v21, v69, v104
	v_fma_f32 v13, -0.5, v23, v13
	v_add_f32_e32 v22, v14, v79
	v_dual_fmac_f32 v14, -0.5, v17 :: v_dual_sub_f32 v17, v106, v108
	v_dual_add_f32 v63, v76, v63 :: v_dual_add_f32 v76, v114, v80
	v_add_f32_e32 v80, v49, v102
	v_fmamk_f32 v116, v18, 0x3f5db3d7, v110
	v_fmac_f32_e32 v110, 0xbf5db3d7, v18
	v_fmamk_f32 v18, v21, 0xbf5db3d7, v13
	v_fmac_f32_e32 v13, 0x3f5db3d7, v21
	v_dual_add_f32 v21, v22, v105 :: v_dual_fmamk_f32 v22, v17, 0xbf5db3d7, v14
	v_fmac_f32_e32 v14, 0x3f5db3d7, v17
	ds_store_b32 v115, v20 offset:7200
	ds_store_b32 v115, v19 offset:8400
	;; [unrolled: 1-line block ×9, first 2 shown]
	global_wb scope:SCOPE_SE
	s_wait_dscnt 0x0
	s_barrier_signal -1
	s_barrier_wait -1
	global_inv scope:SCOPE_SE
	ds_load_2addr_b32 v[37:38], v0 offset1:90
	ds_load_2addr_b32 v[41:42], v95 offset0:132 offset1:222
	ds_load_2addr_b32 v[39:40], v93 offset0:8 offset1:98
	;; [unrolled: 1-line block ×14, first 2 shown]
	global_wb scope:SCOPE_SE
	s_wait_dscnt 0x0
	s_barrier_signal -1
	s_barrier_wait -1
	global_inv scope:SCOPE_SE
	v_fma_f32 v49, -0.5, v109, v49
	ds_store_2addr_b32 v0, v63, v76 offset1:90
	v_dual_add_f32 v63, v80, v81 :: v_dual_add_f32 v80, v50, v98
	v_fmac_f32_e32 v50, -0.5, v77
	v_sub_f32_e32 v66, v66, v72
	v_fmamk_f32 v76, v71, 0x3f5db3d7, v49
	v_dual_fmac_f32 v49, 0xbf5db3d7, v71 :: v_dual_add_f32 v72, v73, v61
	v_add_f32_e32 v73, v47, v73
	s_delay_alu instid0(VALU_DEP_4)
	v_fmamk_f32 v71, v66, 0x3f5db3d7, v50
	v_fmac_f32_e32 v50, 0xbf5db3d7, v66
	v_dual_add_f32 v66, v100, v103 :: v_dual_sub_f32 v59, v59, v64
	v_fma_f32 v47, -0.5, v72, v47
	v_add_f32_e32 v64, v48, v100
	v_sub_f32_e32 v60, v60, v67
	s_delay_alu instid0(VALU_DEP_4) | instskip(NEXT) | instid1(VALU_DEP_4)
	v_fmac_f32_e32 v48, -0.5, v66
	v_dual_add_f32 v67, v97, v70 :: v_dual_fmamk_f32 v66, v59, 0x3f5db3d7, v47
	v_fmac_f32_e32 v47, 0xbf5db3d7, v59
	v_add_f32_e32 v59, v64, v103
	s_delay_alu instid0(VALU_DEP_4)
	v_fmamk_f32 v64, v60, 0x3f5db3d7, v48
	v_fmac_f32_e32 v48, 0xbf5db3d7, v60
	v_add_f32_e32 v60, v101, v78
	v_add_f32_e32 v72, v45, v97
	v_sub_f32_e32 v68, v68, v74
	v_fma_f32 v45, -0.5, v67, v45
	s_delay_alu instid0(VALU_DEP_4) | instskip(NEXT) | instid1(VALU_DEP_4)
	v_dual_add_f32 v67, v46, v101 :: v_dual_fmac_f32 v46, -0.5, v60
	v_dual_sub_f32 v60, v65, v75 :: v_dual_add_f32 v65, v72, v70
	s_delay_alu instid0(VALU_DEP_3) | instskip(SKIP_2) | instid1(VALU_DEP_4)
	v_fmamk_f32 v70, v68, 0x3f5db3d7, v45
	v_fmac_f32_e32 v45, 0xbf5db3d7, v68
	v_add_f32_e32 v72, v69, v104
	v_fmamk_f32 v68, v60, 0x3f5db3d7, v46
	v_fmac_f32_e32 v46, 0xbf5db3d7, v60
	v_dual_add_f32 v60, v106, v108 :: v_dual_add_f32 v69, v43, v69
	v_sub_f32_e32 v58, v58, v62
	v_fma_f32 v43, -0.5, v72, v43
	v_add_f32_e32 v62, v44, v106
	s_delay_alu instid0(VALU_DEP_4)
	v_fmac_f32_e32 v44, -0.5, v60
	v_sub_f32_e32 v60, v79, v105
	ds_store_2addr_b32 v88, v112, v110 offset0:88 offset1:178
	ds_store_2addr_b32 v83, v63, v113 offset0:52 offset1:172
	;; [unrolled: 1-line block ×3, first 2 shown]
	v_add_f32_e32 v63, v80, v99
	v_add_f32_e32 v61, v73, v61
	;; [unrolled: 1-line block ×3, first 2 shown]
	v_dual_add_f32 v69, v69, v104 :: v_dual_fmamk_f32 v72, v58, 0x3f5db3d7, v43
	v_dual_fmac_f32 v43, 0xbf5db3d7, v58 :: v_dual_add_f32 v58, v62, v108
	v_fmamk_f32 v62, v60, 0x3f5db3d7, v44
	v_fmac_f32_e32 v44, 0xbf5db3d7, v60
	ds_store_b32 v0, v49 offset:3120
	ds_store_b32 v56, v63
	ds_store_b32 v56, v71 offset:1200
	ds_store_b32 v56, v50 offset:2400
	ds_store_2addr_b32 v111, v61, v59 offset0:64 offset1:154
	ds_store_2addr_b32 v86, v66, v64 offset0:108 offset1:198
	;; [unrolled: 1-line block ×3, first 2 shown]
	ds_store_b32 v57, v65
	ds_store_b32 v57, v70 offset:1200
	ds_store_b32 v57, v45 offset:2400
	;; [unrolled: 1-line block ×11, first 2 shown]
	global_wb scope:SCOPE_SE
	s_wait_dscnt 0x0
	s_barrier_signal -1
	s_barrier_wait -1
	global_inv scope:SCOPE_SE
	s_and_saveexec_b32 s0, vcc_lo
	s_cbranch_execz .LBB0_15
; %bb.14:
	s_clause 0x1
	global_load_b128 v[43:46], v[11:12], off offset:7176
	global_load_b128 v[47:50], v[7:8], off offset:7176
	v_dual_mov_b32 v8, v6 :: v_dual_lshlrev_b32 v7, 1, v55
	v_dual_mov_b32 v12, v6 :: v_dual_lshlrev_b32 v11, 1, v54
	;; [unrolled: 1-line block ×3, first 2 shown]
	s_delay_alu instid0(VALU_DEP_3) | instskip(SKIP_1) | instid1(VALU_DEP_4)
	v_lshlrev_b64_e32 v[7:8], 3, v[7:8]
	v_dual_mov_b32 v56, v6 :: v_dual_lshlrev_b32 v55, 1, v52
	v_lshlrev_b64_e32 v[11:12], 3, v[11:12]
	s_delay_alu instid0(VALU_DEP_4)
	v_lshlrev_b64_e32 v[52:53], 3, v[53:54]
	v_dual_mov_b32 v58, v6 :: v_dual_add_nc_u32 v57, 0x384, v5
	v_add_co_u32 v7, vcc_lo, s8, v7
	s_wait_alu 0xfffd
	v_add_co_ci_u32_e32 v8, vcc_lo, s9, v8, vcc_lo
	v_lshlrev_b64_e32 v[60:61], 3, v[55:56]
	v_add_co_u32 v11, vcc_lo, s8, v11
	v_dual_mov_b32 v110, v6 :: v_dual_add_nc_u32 v5, 0x2d0, v5
	s_wait_alu 0xfffd
	v_add_co_ci_u32_e32 v12, vcc_lo, s9, v12, vcc_lo
	v_add_co_u32 v62, vcc_lo, s8, v52
	v_lshlrev_b64_e32 v[64:65], 3, v[57:58]
	s_wait_alu 0xfffd
	v_add_co_ci_u32_e32 v63, vcc_lo, s9, v53, vcc_lo
	s_clause 0x1
	global_load_b128 v[52:55], v[7:8], off offset:7176
	global_load_b128 v[56:59], v[11:12], off offset:7176
	v_add_co_u32 v7, vcc_lo, s8, v60
	v_lshlrev_b64_e32 v[68:69], 3, v[5:6]
	s_wait_alu 0xfffd
	v_add_co_ci_u32_e32 v8, vcc_lo, s9, v61, vcc_lo
	v_add_co_u32 v11, vcc_lo, s8, v64
	s_wait_alu 0xfffd
	v_add_co_ci_u32_e32 v12, vcc_lo, s9, v65, vcc_lo
	s_clause 0x1
	global_load_b128 v[60:63], v[62:63], off offset:7176
	global_load_b128 v[64:67], v[7:8], off offset:7176
	v_add_co_u32 v7, vcc_lo, s8, v68
	v_dual_mov_b32 v114, v6 :: v_dual_lshlrev_b32 v5, 1, v51
	s_wait_alu 0xfffd
	v_add_co_ci_u32_e32 v8, vcc_lo, s9, v69, vcc_lo
	s_clause 0x2
	global_load_b128 v[68:71], v[11:12], off offset:7176
	global_load_b128 v[72:75], v[7:8], off offset:7176
	;; [unrolled: 1-line block ×3, first 2 shown]
	v_lshlrev_b64_e32 v[11:12], 3, v[5:6]
	v_mul_lo_u32 v5, s3, v3
	v_mul_lo_u32 v51, s2, v4
	v_mad_co_u64_u32 v[3:4], null, s2, v3, 0
	v_add_nc_u32_e32 v109, 0xb4, v82
	v_add_co_u32 v11, vcc_lo, s8, v11
	s_wait_alu 0xfffd
	v_add_co_ci_u32_e32 v12, vcc_lo, s9, v12, vcc_lo
	v_mul_hi_u32 v113, 0x91a2b3c5, v82
	v_mul_hi_u32 v116, 0x91a2b3c5, v109
	v_add3_u32 v4, v4, v51, v5
	global_load_b128 v[76:79], v[11:12], off offset:7176
	ds_load_2addr_b32 v[11:12], v95 offset0:132 offset1:222
	ds_load_2addr_b32 v[80:81], v93 offset0:8 offset1:98
	;; [unrolled: 1-line block ×13, first 2 shown]
	ds_load_2addr_b32 v[111:112], v0 offset1:90
	v_add_nc_u32_e32 v88, 0x5a, v82
	v_lshrrev_b32_e32 v0, 9, v113
	v_lshlrev_b64_e32 v[3:4], 3, v[3:4]
	v_lshrrev_b32_e32 v51, 9, v116
	v_lshlrev_b64_e32 v[1:2], 3, v[1:2]
	v_mul_hi_u32 v115, 0x91a2b3c5, v88
	v_mul_u32_u24_e32 v0, 0x384, v0
	ds_load_2addr_b32 v[107:108], v85 offset0:60 offset1:150
	v_add_co_u32 v3, vcc_lo, s6, v3
	v_add_nc_u32_e32 v85, 0x10e, v82
	v_sub_nc_u32_e32 v0, v82, v0
	s_wait_alu 0xfffd
	v_add_co_ci_u32_e32 v4, vcc_lo, s7, v4, vcc_lo
	v_lshrrev_b32_e32 v113, 9, v115
	v_mul_u32_u24_e32 v115, 0x384, v51
	s_delay_alu instid0(VALU_DEP_2) | instskip(NEXT) | instid1(VALU_DEP_1)
	v_mul_u32_u24_e32 v5, 0x384, v113
	v_sub_nc_u32_e32 v5, v88, v5
	s_delay_alu instid0(VALU_DEP_3) | instskip(SKIP_2) | instid1(VALU_DEP_4)
	v_sub_nc_u32_e32 v88, v109, v115
	v_lshlrev_b32_e32 v115, 3, v0
	v_add_co_u32 v0, vcc_lo, v3, v1
	v_mad_u32_u24 v5, 0xa8c, v113, v5
	s_wait_alu 0xfffd
	v_add_co_ci_u32_e32 v1, vcc_lo, v4, v2, vcc_lo
	s_delay_alu instid0(VALU_DEP_2)
	v_lshlrev_b64_e32 v[2:3], 3, v[5:6]
	v_add_nc_u32_e32 v109, 0x384, v5
	s_wait_loadcnt 0x9
	v_dual_mul_f32 v4, v42, v44 :: v_dual_add_nc_u32 v5, 0x708, v5
	s_wait_dscnt 0xe
	v_mul_f32_e32 v44, v12, v44
	v_mul_hi_u32 v117, 0x91a2b3c5, v85
	s_delay_alu instid0(VALU_DEP_3) | instskip(NEXT) | instid1(VALU_DEP_3)
	v_fma_f32 v4, v43, v12, -v4
	v_fmac_f32_e32 v44, v42, v43
	s_delay_alu instid0(VALU_DEP_3)
	v_lshrrev_b32_e32 v121, 9, v117
	v_lshlrev_b64_e32 v[117:118], 3, v[5:6]
	v_mad_u32_u24 v5, 0xa8c, v51, v88
	s_wait_loadcnt 0x8
	v_mul_f32_e32 v88, v41, v48
	v_dual_mul_f32 v48, v11, v48 :: v_dual_mul_f32 v51, v40, v46
	s_wait_dscnt 0xd
	v_mul_f32_e32 v46, v81, v46
	v_mul_f32_e32 v123, v39, v50
	v_dual_mul_f32 v50, v80, v50 :: v_dual_add_nc_u32 v113, 0x384, v5
	v_lshlrev_b64_e32 v[119:120], 3, v[5:6]
	v_add_nc_u32_e32 v5, 0x708, v5
	v_fmac_f32_e32 v46, v40, v45
	v_fma_f32 v11, v47, v11, -v88
	v_fmac_f32_e32 v48, v41, v47
	v_fma_f32 v51, v45, v81, -v51
	v_fma_f32 v41, v49, v80, -v123
	v_dual_fmac_f32 v50, v39, v49 :: v_dual_add_f32 v39, v44, v46
	s_wait_dscnt 0x1
	v_add_f32_e32 v40, v112, v4
	v_dual_add_f32 v12, v4, v51 :: v_dual_add_f32 v47, v38, v44
	s_delay_alu instid0(VALU_DEP_3)
	v_dual_add_f32 v42, v11, v41 :: v_dual_add_f32 v43, v48, v50
	v_add_f32_e32 v45, v111, v11
	v_dual_add_f32 v49, v37, v48 :: v_dual_sub_f32 v80, v44, v46
	v_sub_f32_e32 v4, v4, v51
	v_dual_sub_f32 v48, v48, v50 :: v_dual_sub_f32 v81, v11, v41
	v_fma_f32 v12, -0.5, v12, v112
	v_fma_f32 v11, -0.5, v39, v38
	;; [unrolled: 1-line block ×3, first 2 shown]
	v_dual_add_f32 v40, v40, v51 :: v_dual_add_f32 v39, v47, v46
	v_add_f32_e32 v42, v45, v41
	v_add_f32_e32 v41, v49, v50
	s_wait_loadcnt 0x7
	v_mul_f32_e32 v49, v36, v55
	v_mul_f32_e32 v47, v34, v53
	v_dual_mul_f32 v50, v90, v53 :: v_dual_mul_f32 v51, v96, v55
	s_wait_loadcnt 0x6
	v_mul_f32_e32 v53, v33, v57
	s_wait_loadcnt 0x5
	v_dual_mul_f32 v55, v35, v59 :: v_dual_mul_f32 v88, v30, v61
	s_wait_loadcnt_dscnt 0x100
	v_dual_mul_f32 v57, v89, v57 :: v_dual_mul_f32 v130, v107, v10
	v_dual_mul_f32 v59, v95, v59 :: v_dual_mul_f32 v112, v29, v65
	;; [unrolled: 1-line block ×5, first 2 shown]
	v_dual_mul_f32 v123, v31, v67 :: v_dual_fmamk_f32 v44, v80, 0xbf5db3d7, v12
	v_dual_mul_f32 v65, v93, v65 :: v_dual_fmac_f32 v12, 0x3f5db3d7, v80
	v_dual_mul_f32 v67, v101, v67 :: v_dual_fmamk_f32 v46, v48, 0xbf5db3d7, v38
	v_dual_mul_f32 v125, v28, v71 :: v_dual_fmac_f32 v38, 0x3f5db3d7, v48
	v_dual_mul_f32 v69, v104, v69 :: v_dual_fmac_f32 v50, v34, v52
	v_add_co_u32 v115, vcc_lo, v0, v115
	v_lshlrev_b64_e32 v[109:110], 3, v[109:110]
	v_fma_f32 v37, -0.5, v43, v37
	s_wait_loadcnt 0x0
	v_dual_mul_f32 v73, v103, v73 :: v_dual_mul_f32 v48, v108, v79
	v_mul_f32_e32 v8, v83, v8
	v_mul_f32_e32 v129, v23, v10
	v_fma_f32 v10, v54, v96, -v49
	v_fmac_f32_e32 v69, v26, v68
	v_fma_f32 v26, v72, v103, -v126
	v_fmac_f32_e32 v65, v29, v64
	v_fmac_f32_e32 v67, v31, v66
	v_fmac_f32_e32 v61, v30, v60
	v_fma_f32 v30, v64, v93, -v112
	v_fmac_f32_e32 v57, v33, v56
	v_fmac_f32_e32 v51, v36, v54
	v_fmamk_f32 v43, v4, 0x3f5db3d7, v11
	v_fma_f32 v33, v60, v94, -v88
	v_fmac_f32_e32 v59, v35, v58
	v_fmac_f32_e32 v11, 0xbf5db3d7, v4
	v_fma_f32 v4, v52, v90, -v47
	v_mul_f32_e32 v127, v27, v75
	v_dual_mul_f32 v75, v86, v75 :: v_dual_fmac_f32 v130, v23, v9
	v_fma_f32 v29, v68, v104, -v124
	v_fma_f32 v31, v70, v87, -v125
	s_wait_alu 0xfffd
	v_add_co_ci_u32_e32 v116, vcc_lo, 0, v1, vcc_lo
	v_fmac_f32_e32 v63, v32, v62
	v_fma_f32 v32, v66, v101, -v123
	v_add_co_u32 v2, vcc_lo, v0, v2
	s_wait_alu 0xfffd
	v_add_co_ci_u32_e32 v3, vcc_lo, v1, v3, vcc_lo
	s_delay_alu instid0(VALU_DEP_3)
	v_sub_f32_e32 v54, v30, v32
	v_add_co_u32 v109, vcc_lo, v0, v109
	v_mul_f32_e32 v71, v87, v71
	v_fma_f32 v34, v56, v89, -v53
	v_fma_f32 v36, v58, v95, -v55
	v_dual_fmac_f32 v73, v25, v72 :: v_dual_fmac_f32 v48, v24, v78
	v_dual_sub_f32 v60, v29, v31 :: v_dual_fmac_f32 v75, v27, v74
	v_fmamk_f32 v45, v81, 0x3f5db3d7, v37
	v_fmac_f32_e32 v37, 0xbf5db3d7, v81
	s_wait_alu 0xfffd
	v_add_co_ci_u32_e32 v110, vcc_lo, v1, v110, vcc_lo
	v_add_co_u32 v117, vcc_lo, v0, v117
	s_wait_alu 0xfffd
	v_add_co_ci_u32_e32 v118, vcc_lo, v1, v118, vcc_lo
	v_fma_f32 v35, v62, v102, -v111
	v_fma_f32 v49, v7, v83, -v128
	v_fmac_f32_e32 v8, v21, v7
	v_fma_f32 v52, v9, v107, -v129
	s_clause 0x5
	global_store_b64 v[115:116], v[41:42], off
	global_store_b64 v[115:116], v[37:38], off offset:7200
	global_store_b64 v[115:116], v[45:46], off offset:14400
	global_store_b64 v[2:3], v[39:40], off
	global_store_b64 v[109:110], v[11:12], off
	;; [unrolled: 1-line block ×3, first 2 shown]
	v_add_f32_e32 v2, v4, v10
	v_dual_fmac_f32 v71, v28, v70 :: v_dual_sub_f32 v62, v73, v75
	v_mul_f32_e32 v25, v22, v77
	v_dual_add_f32 v7, v98, v4 :: v_dual_add_f32 v68, v15, v73
	v_sub_f32_e32 v4, v4, v10
	v_fma_f32 v28, v74, v86, -v127
	v_dual_add_f32 v12, v34, v36 :: v_dual_add_f32 v21, v97, v34
	v_dual_sub_f32 v41, v34, v36 :: v_dual_add_f32 v34, v19, v57
	v_dual_add_f32 v9, v50, v51 :: v_dual_add_f32 v74, v105, v49
	s_delay_alu instid0(VALU_DEP_4)
	v_dual_mul_f32 v27, v24, v79 :: v_dual_sub_f32 v66, v26, v28
	v_dual_mul_f32 v47, v84, v77 :: v_dual_add_f32 v72, v49, v52
	v_dual_sub_f32 v38, v50, v51 :: v_dual_add_f32 v11, v20, v50
	v_sub_f32_e32 v44, v33, v35
	v_add_f32_e32 v50, v99, v30
	v_sub_f32_e32 v40, v57, v59
	v_add_f32_e32 v23, v57, v59
	v_add_f32_e32 v55, v29, v31
	v_dual_sub_f32 v56, v69, v71 :: v_dual_add_f32 v45, v30, v32
	v_add_f32_e32 v58, v69, v71
	v_add_f32_e32 v64, v91, v26
	;; [unrolled: 1-line block ×3, first 2 shown]
	v_sub_f32_e32 v77, v49, v52
	v_add_f32_e32 v49, v13, v8
	v_add_f32_e32 v57, v92, v29
	;; [unrolled: 1-line block ×3, first 2 shown]
	v_fma_f32 v69, v76, v84, -v25
	v_add_f32_e32 v37, v33, v35
	v_fma_f32 v3, -0.5, v2, v98
	v_fma_f32 v2, -0.5, v9, v20
	v_add_f32_e32 v53, v65, v67
	v_sub_f32_e32 v46, v65, v67
	v_sub_f32_e32 v42, v61, v63
	v_add_f32_e32 v43, v61, v63
	v_add_f32_e32 v65, v73, v75
	v_fmac_f32_e32 v47, v22, v76
	v_sub_f32_e32 v73, v8, v130
	v_add_f32_e32 v76, v8, v130
	v_add_f32_e32 v8, v7, v10
	v_fma_f32 v10, -0.5, v12, v97
	v_fma_f32 v9, -0.5, v23, v19
	v_add_f32_e32 v25, v50, v32
	v_add_f32_e32 v24, v30, v67
	;; [unrolled: 1-line block ×4, first 2 shown]
	v_fma_f32 v19, -0.5, v37, v100
	v_fmamk_f32 v36, v4, 0x3f5db3d7, v2
	v_fmac_f32_e32 v2, 0xbf5db3d7, v4
	v_fma_f32 v22, -0.5, v53, v17
	v_mul_u32_u24_e32 v122, 0x384, v121
	v_add_f32_e32 v39, v100, v33
	v_fma_f32 v70, v78, v108, -v27
	v_fma_f32 v16, -0.5, v58, v16
	v_add_f32_e32 v7, v11, v51
	v_fmamk_f32 v37, v38, 0xbf5db3d7, v3
	v_fmac_f32_e32 v3, 0x3f5db3d7, v38
	v_dual_fmamk_f32 v38, v41, 0x3f5db3d7, v9 :: v_dual_add_f32 v33, v18, v61
	v_fma_f32 v18, -0.5, v43, v18
	v_fmac_f32_e32 v9, 0xbf5db3d7, v41
	v_fmamk_f32 v41, v42, 0xbf5db3d7, v19
	v_dual_fmac_f32 v19, 0x3f5db3d7, v42 :: v_dual_fmamk_f32 v42, v54, 0x3f5db3d7, v22
	v_dual_fmac_f32 v22, 0xbf5db3d7, v54 :: v_dual_add_f32 v51, v47, v48
	v_add_f32_e32 v61, v26, v28
	v_add_f32_e32 v11, v34, v59
	;; [unrolled: 1-line block ×6, first 2 shown]
	v_fma_f32 v32, -0.5, v76, v13
	v_dual_add_f32 v34, v49, v130 :: v_dual_fmamk_f32 v39, v40, 0xbf5db3d7, v10
	v_fmac_f32_e32 v10, 0x3f5db3d7, v40
	v_fma_f32 v17, -0.5, v55, v92
	v_fmamk_f32 v40, v44, 0x3f5db3d7, v18
	v_fmac_f32_e32 v18, 0xbf5db3d7, v44
	v_dual_fmamk_f32 v44, v60, 0x3f5db3d7, v16 :: v_dual_add_f32 v27, v57, v31
	v_sub_f32_e32 v57, v69, v70
	v_fma_f32 v14, -0.5, v51, v14
	v_add_f32_e32 v31, v64, v28
	v_fma_f32 v28, -0.5, v65, v15
	v_add_f32_e32 v15, v69, v70
	v_sub_nc_u32_e32 v4, v85, v122
	v_add_nc_u32_e32 v13, 0x168, v82
	v_lshlrev_b64_e32 v[113:114], 3, v[113:114]
	v_fma_f32 v29, -0.5, v61, v91
	v_add_f32_e32 v30, v68, v75
	v_fma_f32 v23, -0.5, v45, v99
	v_add_f32_e32 v35, v74, v52
	v_fmamk_f32 v45, v56, 0xbf5db3d7, v17
	v_dual_fmac_f32 v17, 0x3f5db3d7, v56 :: v_dual_fmamk_f32 v52, v57, 0x3f5db3d7, v14
	v_fmac_f32_e32 v14, 0xbf5db3d7, v57
	v_fma_f32 v15, -0.5, v15, v106
	v_lshlrev_b64_e32 v[56:57], 3, v[5:6]
	v_mad_u32_u24 v5, 0xa8c, v121, v4
	v_sub_f32_e32 v55, v47, v48
	v_mul_hi_u32 v4, 0x91a2b3c5, v13
	v_add_co_u32 v54, vcc_lo, v0, v119
	v_fma_f32 v33, -0.5, v72, v105
	v_fmamk_f32 v47, v62, 0xbf5db3d7, v29
	v_fmac_f32_e32 v29, 0x3f5db3d7, v62
	v_add_nc_u32_e32 v62, 0x384, v5
	v_dual_add_f32 v48, v53, v48 :: v_dual_fmamk_f32 v53, v55, 0xbf5db3d7, v15
	v_fmac_f32_e32 v15, 0x3f5db3d7, v55
	s_wait_alu 0xfffd
	v_add_co_ci_u32_e32 v55, vcc_lo, v1, v120, vcc_lo
	v_add_co_u32 v58, vcc_lo, v0, v113
	s_wait_alu 0xfffd
	v_add_co_ci_u32_e32 v59, vcc_lo, v1, v114, vcc_lo
	v_add_co_u32 v56, vcc_lo, v0, v56
	v_lshrrev_b32_e32 v4, 9, v4
	v_add_f32_e32 v49, v50, v70
	v_fmamk_f32 v51, v73, 0xbf5db3d7, v33
	v_dual_fmac_f32 v33, 0x3f5db3d7, v73 :: v_dual_fmamk_f32 v50, v77, 0x3f5db3d7, v32
	v_fmac_f32_e32 v32, 0xbf5db3d7, v77
	s_wait_alu 0xfffd
	v_add_co_ci_u32_e32 v57, vcc_lo, v1, v57, vcc_lo
	v_fmac_f32_e32 v16, 0xbf5db3d7, v60
	v_lshlrev_b64_e32 v[60:61], 3, v[5:6]
	s_clause 0x2
	global_store_b64 v[54:55], v[34:35], off
	global_store_b64 v[58:59], v[32:33], off
	;; [unrolled: 1-line block ×3, first 2 shown]
	v_add_nc_u32_e32 v5, 0x708, v5
	v_mul_u32_u24_e32 v54, 0x384, v4
	v_dual_mov_b32 v63, v6 :: v_dual_add_nc_u32 v58, 0x1c2, v82
	v_add_co_u32 v34, vcc_lo, v0, v60
	s_delay_alu instid0(VALU_DEP_4) | instskip(NEXT) | instid1(VALU_DEP_4)
	v_lshlrev_b64_e32 v[50:51], 3, v[5:6]
	v_sub_nc_u32_e32 v5, v13, v54
	s_delay_alu instid0(VALU_DEP_4)
	v_lshlrev_b64_e32 v[32:33], 3, v[62:63]
	s_wait_alu 0xfffd
	v_add_co_ci_u32_e32 v35, vcc_lo, v1, v61, vcc_lo
	v_mov_b32_e32 v57, v6
	v_mad_u32_u24 v5, 0xa8c, v4, v5
	v_mul_hi_u32 v4, 0x91a2b3c5, v58
	v_add_co_u32 v32, vcc_lo, v0, v32
	s_wait_alu 0xfffd
	v_add_co_ci_u32_e32 v33, vcc_lo, v1, v33, vcc_lo
	v_add_co_u32 v50, vcc_lo, v0, v50
	s_wait_alu 0xfffd
	v_add_co_ci_u32_e32 v51, vcc_lo, v1, v51, vcc_lo
	v_lshrrev_b32_e32 v4, 9, v4
	v_lshlrev_b64_e32 v[54:55], 3, v[5:6]
	v_add_nc_u32_e32 v56, 0x384, v5
	s_clause 0x2
	global_store_b64 v[34:35], v[48:49], off
	global_store_b64 v[32:33], v[14:15], off
	;; [unrolled: 1-line block ×3, first 2 shown]
	v_add_nc_u32_e32 v5, 0x708, v5
	v_mul_u32_u24_e32 v15, 0x384, v4
	v_fmamk_f32 v43, v46, 0xbf5db3d7, v23
	v_lshlrev_b64_e32 v[13:14], 3, v[56:57]
	v_add_co_u32 v32, vcc_lo, v0, v54
	v_lshlrev_b64_e32 v[34:35], 3, v[5:6]
	v_sub_nc_u32_e32 v5, v58, v15
	v_add_nc_u32_e32 v15, 0x21c, v82
	s_wait_alu 0xfffd
	v_add_co_ci_u32_e32 v33, vcc_lo, v1, v55, vcc_lo
	v_add_co_u32 v13, vcc_lo, v0, v13
	v_mad_u32_u24 v5, 0xa8c, v4, v5
	v_mul_hi_u32 v4, 0x91a2b3c5, v15
	s_wait_alu 0xfffd
	v_add_co_ci_u32_e32 v14, vcc_lo, v1, v14, vcc_lo
	v_add_co_u32 v34, vcc_lo, v0, v34
	v_dual_fmac_f32 v23, 0x3f5db3d7, v46 :: v_dual_fmamk_f32 v46, v66, 0x3f5db3d7, v28
	v_fmac_f32_e32 v28, 0xbf5db3d7, v66
	v_lshrrev_b32_e32 v4, 9, v4
	s_wait_alu 0xfffd
	v_add_co_ci_u32_e32 v35, vcc_lo, v1, v35, vcc_lo
	v_lshlrev_b64_e32 v[48:49], 3, v[5:6]
	v_add_nc_u32_e32 v50, 0x384, v5
	s_clause 0x2
	global_store_b64 v[32:33], v[30:31], off
	global_store_b64 v[13:14], v[28:29], off
	;; [unrolled: 1-line block ×3, first 2 shown]
	v_add_nc_u32_e32 v5, 0x708, v5
	v_mul_u32_u24_e32 v32, 0x384, v4
	v_dual_mov_b32 v51, v6 :: v_dual_add_nc_u32 v46, 0x276, v82
	v_add_co_u32 v28, vcc_lo, v0, v48
	s_delay_alu instid0(VALU_DEP_4) | instskip(NEXT) | instid1(VALU_DEP_4)
	v_lshlrev_b64_e32 v[30:31], 3, v[5:6]
	v_sub_nc_u32_e32 v5, v15, v32
	s_delay_alu instid0(VALU_DEP_4)
	v_lshlrev_b64_e32 v[13:14], 3, v[50:51]
	s_wait_alu 0xfffd
	v_add_co_ci_u32_e32 v29, vcc_lo, v1, v49, vcc_lo
	v_mov_b32_e32 v35, v6
	v_mad_u32_u24 v5, 0xa8c, v4, v5
	v_mul_hi_u32 v4, 0x91a2b3c5, v46
	v_add_co_u32 v13, vcc_lo, v0, v13
	s_wait_alu 0xfffd
	v_add_co_ci_u32_e32 v14, vcc_lo, v1, v14, vcc_lo
	v_add_co_u32 v30, vcc_lo, v0, v30
	s_wait_alu 0xfffd
	v_add_co_ci_u32_e32 v31, vcc_lo, v1, v31, vcc_lo
	v_lshrrev_b32_e32 v4, 9, v4
	v_lshlrev_b64_e32 v[32:33], 3, v[5:6]
	v_add_nc_u32_e32 v34, 0x384, v5
	s_clause 0x2
	global_store_b64 v[28:29], v[26:27], off
	global_store_b64 v[13:14], v[16:17], off
	;; [unrolled: 1-line block ×3, first 2 shown]
	v_add_nc_u32_e32 v5, 0x708, v5
	v_mul_u32_u24_e32 v17, 0x384, v4
	v_mov_b32_e32 v29, v6
	v_lshlrev_b64_e32 v[13:14], 3, v[34:35]
	v_add_co_u32 v15, vcc_lo, v0, v32
	v_lshlrev_b64_e32 v[26:27], 3, v[5:6]
	v_sub_nc_u32_e32 v5, v46, v17
	v_add_nc_u32_e32 v17, 0x2d0, v82
	s_wait_alu 0xfffd
	v_add_co_ci_u32_e32 v16, vcc_lo, v1, v33, vcc_lo
	v_add_co_u32 v13, vcc_lo, v0, v13
	s_delay_alu instid0(VALU_DEP_3) | instskip(SKIP_4) | instid1(VALU_DEP_3)
	v_mul_hi_u32 v30, 0x91a2b3c5, v17
	v_mad_u32_u24 v5, 0xa8c, v4, v5
	s_wait_alu 0xfffd
	v_add_co_ci_u32_e32 v14, vcc_lo, v1, v14, vcc_lo
	v_add_co_u32 v26, vcc_lo, v0, v26
	v_add_nc_u32_e32 v28, 0x384, v5
	s_wait_alu 0xfffd
	v_add_co_ci_u32_e32 v27, vcc_lo, v1, v27, vcc_lo
	v_lshrrev_b32_e32 v4, 9, v30
	s_clause 0x2
	global_store_b64 v[15:16], v[24:25], off
	global_store_b64 v[13:14], v[22:23], off
	;; [unrolled: 1-line block ×3, first 2 shown]
	v_lshlrev_b64_e32 v[15:16], 3, v[28:29]
	v_add_nc_u32_e32 v28, 0x32a, v82
	v_lshlrev_b64_e32 v[13:14], 3, v[5:6]
	v_add_nc_u32_e32 v5, 0x708, v5
	v_mul_u32_u24_e32 v24, 0x384, v4
	v_mov_b32_e32 v27, v6
	v_mul_hi_u32 v25, 0x91a2b3c5, v28
	s_delay_alu instid0(VALU_DEP_4) | instskip(NEXT) | instid1(VALU_DEP_4)
	v_lshlrev_b64_e32 v[22:23], 3, v[5:6]
	v_sub_nc_u32_e32 v5, v17, v24
	v_add_co_u32 v13, vcc_lo, v0, v13
	s_wait_alu 0xfffd
	v_add_co_ci_u32_e32 v14, vcc_lo, v1, v14, vcc_lo
	s_delay_alu instid0(VALU_DEP_3)
	v_mad_u32_u24 v5, 0xa8c, v4, v5
	v_lshrrev_b32_e32 v4, 9, v25
	v_add_co_u32 v15, vcc_lo, v0, v15
	s_wait_alu 0xfffd
	v_add_co_ci_u32_e32 v16, vcc_lo, v1, v16, vcc_lo
	v_add_nc_u32_e32 v26, 0x384, v5
	v_add_co_u32 v22, vcc_lo, v0, v22
	v_mul_u32_u24_e32 v17, 0x384, v4
	s_wait_alu 0xfffd
	v_add_co_ci_u32_e32 v23, vcc_lo, v1, v23, vcc_lo
	v_lshlrev_b64_e32 v[24:25], 3, v[5:6]
	s_clause 0x2
	global_store_b64 v[13:14], v[20:21], off
	global_store_b64 v[15:16], v[18:19], off
	;; [unrolled: 1-line block ×3, first 2 shown]
	v_add_nc_u32_e32 v5, 0x708, v5
	v_sub_nc_u32_e32 v19, v28, v17
	v_lshlrev_b64_e32 v[13:14], 3, v[26:27]
	v_mov_b32_e32 v22, v6
	v_add_co_u32 v15, vcc_lo, v0, v24
	v_lshlrev_b64_e32 v[17:18], 3, v[5:6]
	v_mad_u32_u24 v5, 0xa8c, v4, v19
	s_wait_alu 0xfffd
	v_add_co_ci_u32_e32 v16, vcc_lo, v1, v25, vcc_lo
	v_add_co_u32 v13, vcc_lo, v0, v13
	s_delay_alu instid0(VALU_DEP_3)
	v_add_nc_u32_e32 v21, 0x384, v5
	v_lshlrev_b64_e32 v[19:20], 3, v[5:6]
	v_add_nc_u32_e32 v5, 0x708, v5
	s_wait_alu 0xfffd
	v_add_co_ci_u32_e32 v14, vcc_lo, v1, v14, vcc_lo
	v_add_co_u32 v17, vcc_lo, v0, v17
	v_lshlrev_b64_e32 v[21:22], 3, v[21:22]
	s_wait_alu 0xfffd
	v_add_co_ci_u32_e32 v18, vcc_lo, v1, v18, vcc_lo
	v_add_co_u32 v19, vcc_lo, v0, v19
	v_lshlrev_b64_e32 v[4:5], 3, v[5:6]
	s_wait_alu 0xfffd
	v_add_co_ci_u32_e32 v20, vcc_lo, v1, v20, vcc_lo
	v_add_co_u32 v21, vcc_lo, v0, v21
	s_wait_alu 0xfffd
	v_add_co_ci_u32_e32 v22, vcc_lo, v1, v22, vcc_lo
	v_add_co_u32 v0, vcc_lo, v0, v4
	s_wait_alu 0xfffd
	v_add_co_ci_u32_e32 v1, vcc_lo, v1, v5, vcc_lo
	s_clause 0x5
	global_store_b64 v[15:16], v[11:12], off
	global_store_b64 v[13:14], v[9:10], off
	;; [unrolled: 1-line block ×6, first 2 shown]
.LBB0_15:
	s_nop 0
	s_sendmsg sendmsg(MSG_DEALLOC_VGPRS)
	s_endpgm
	.section	.rodata,"a",@progbits
	.p2align	6, 0x0
	.amdhsa_kernel fft_rtc_back_len2700_factors_3_10_10_3_3_wgs_90_tpt_90_halfLds_sp_op_CI_CI_unitstride_sbrr_dirReg
		.amdhsa_group_segment_fixed_size 0
		.amdhsa_private_segment_fixed_size 0
		.amdhsa_kernarg_size 104
		.amdhsa_user_sgpr_count 2
		.amdhsa_user_sgpr_dispatch_ptr 0
		.amdhsa_user_sgpr_queue_ptr 0
		.amdhsa_user_sgpr_kernarg_segment_ptr 1
		.amdhsa_user_sgpr_dispatch_id 0
		.amdhsa_user_sgpr_private_segment_size 0
		.amdhsa_wavefront_size32 1
		.amdhsa_uses_dynamic_stack 0
		.amdhsa_enable_private_segment 0
		.amdhsa_system_sgpr_workgroup_id_x 1
		.amdhsa_system_sgpr_workgroup_id_y 0
		.amdhsa_system_sgpr_workgroup_id_z 0
		.amdhsa_system_sgpr_workgroup_info 0
		.amdhsa_system_vgpr_workitem_id 0
		.amdhsa_next_free_vgpr 152
		.amdhsa_next_free_sgpr 39
		.amdhsa_reserve_vcc 1
		.amdhsa_float_round_mode_32 0
		.amdhsa_float_round_mode_16_64 0
		.amdhsa_float_denorm_mode_32 3
		.amdhsa_float_denorm_mode_16_64 3
		.amdhsa_fp16_overflow 0
		.amdhsa_workgroup_processor_mode 1
		.amdhsa_memory_ordered 1
		.amdhsa_forward_progress 0
		.amdhsa_round_robin_scheduling 0
		.amdhsa_exception_fp_ieee_invalid_op 0
		.amdhsa_exception_fp_denorm_src 0
		.amdhsa_exception_fp_ieee_div_zero 0
		.amdhsa_exception_fp_ieee_overflow 0
		.amdhsa_exception_fp_ieee_underflow 0
		.amdhsa_exception_fp_ieee_inexact 0
		.amdhsa_exception_int_div_zero 0
	.end_amdhsa_kernel
	.text
.Lfunc_end0:
	.size	fft_rtc_back_len2700_factors_3_10_10_3_3_wgs_90_tpt_90_halfLds_sp_op_CI_CI_unitstride_sbrr_dirReg, .Lfunc_end0-fft_rtc_back_len2700_factors_3_10_10_3_3_wgs_90_tpt_90_halfLds_sp_op_CI_CI_unitstride_sbrr_dirReg
                                        ; -- End function
	.section	.AMDGPU.csdata,"",@progbits
; Kernel info:
; codeLenInByte = 18696
; NumSgprs: 41
; NumVgprs: 152
; ScratchSize: 0
; MemoryBound: 0
; FloatMode: 240
; IeeeMode: 1
; LDSByteSize: 0 bytes/workgroup (compile time only)
; SGPRBlocks: 5
; VGPRBlocks: 18
; NumSGPRsForWavesPerEU: 41
; NumVGPRsForWavesPerEU: 152
; Occupancy: 9
; WaveLimiterHint : 1
; COMPUTE_PGM_RSRC2:SCRATCH_EN: 0
; COMPUTE_PGM_RSRC2:USER_SGPR: 2
; COMPUTE_PGM_RSRC2:TRAP_HANDLER: 0
; COMPUTE_PGM_RSRC2:TGID_X_EN: 1
; COMPUTE_PGM_RSRC2:TGID_Y_EN: 0
; COMPUTE_PGM_RSRC2:TGID_Z_EN: 0
; COMPUTE_PGM_RSRC2:TIDIG_COMP_CNT: 0
	.text
	.p2alignl 7, 3214868480
	.fill 96, 4, 3214868480
	.type	__hip_cuid_14f7209d5c4eebbf,@object ; @__hip_cuid_14f7209d5c4eebbf
	.section	.bss,"aw",@nobits
	.globl	__hip_cuid_14f7209d5c4eebbf
__hip_cuid_14f7209d5c4eebbf:
	.byte	0                               ; 0x0
	.size	__hip_cuid_14f7209d5c4eebbf, 1

	.ident	"AMD clang version 19.0.0git (https://github.com/RadeonOpenCompute/llvm-project roc-6.4.0 25133 c7fe45cf4b819c5991fe208aaa96edf142730f1d)"
	.section	".note.GNU-stack","",@progbits
	.addrsig
	.addrsig_sym __hip_cuid_14f7209d5c4eebbf
	.amdgpu_metadata
---
amdhsa.kernels:
  - .args:
      - .actual_access:  read_only
        .address_space:  global
        .offset:         0
        .size:           8
        .value_kind:     global_buffer
      - .offset:         8
        .size:           8
        .value_kind:     by_value
      - .actual_access:  read_only
        .address_space:  global
        .offset:         16
        .size:           8
        .value_kind:     global_buffer
      - .actual_access:  read_only
        .address_space:  global
        .offset:         24
        .size:           8
        .value_kind:     global_buffer
      - .actual_access:  read_only
        .address_space:  global
        .offset:         32
        .size:           8
        .value_kind:     global_buffer
      - .offset:         40
        .size:           8
        .value_kind:     by_value
      - .actual_access:  read_only
        .address_space:  global
        .offset:         48
        .size:           8
        .value_kind:     global_buffer
      - .actual_access:  read_only
        .address_space:  global
        .offset:         56
        .size:           8
        .value_kind:     global_buffer
      - .offset:         64
        .size:           4
        .value_kind:     by_value
      - .actual_access:  read_only
        .address_space:  global
        .offset:         72
        .size:           8
        .value_kind:     global_buffer
      - .actual_access:  read_only
        .address_space:  global
        .offset:         80
        .size:           8
        .value_kind:     global_buffer
      - .actual_access:  read_only
        .address_space:  global
        .offset:         88
        .size:           8
        .value_kind:     global_buffer
      - .actual_access:  write_only
        .address_space:  global
        .offset:         96
        .size:           8
        .value_kind:     global_buffer
    .group_segment_fixed_size: 0
    .kernarg_segment_align: 8
    .kernarg_segment_size: 104
    .language:       OpenCL C
    .language_version:
      - 2
      - 0
    .max_flat_workgroup_size: 90
    .name:           fft_rtc_back_len2700_factors_3_10_10_3_3_wgs_90_tpt_90_halfLds_sp_op_CI_CI_unitstride_sbrr_dirReg
    .private_segment_fixed_size: 0
    .sgpr_count:     41
    .sgpr_spill_count: 0
    .symbol:         fft_rtc_back_len2700_factors_3_10_10_3_3_wgs_90_tpt_90_halfLds_sp_op_CI_CI_unitstride_sbrr_dirReg.kd
    .uniform_work_group_size: 1
    .uses_dynamic_stack: false
    .vgpr_count:     152
    .vgpr_spill_count: 0
    .wavefront_size: 32
    .workgroup_processor_mode: 1
amdhsa.target:   amdgcn-amd-amdhsa--gfx1201
amdhsa.version:
  - 1
  - 2
...

	.end_amdgpu_metadata
